;; amdgpu-corpus repo=ROCm/rocFFT kind=compiled arch=gfx950 opt=O3
	.text
	.amdgcn_target "amdgcn-amd-amdhsa--gfx950"
	.amdhsa_code_object_version 6
	.protected	fft_rtc_fwd_len425_factors_17_5_5_wgs_51_tpt_17_halfLds_half_op_CI_CI_sbrr_dirReg ; -- Begin function fft_rtc_fwd_len425_factors_17_5_5_wgs_51_tpt_17_halfLds_half_op_CI_CI_sbrr_dirReg
	.globl	fft_rtc_fwd_len425_factors_17_5_5_wgs_51_tpt_17_halfLds_half_op_CI_CI_sbrr_dirReg
	.p2align	8
	.type	fft_rtc_fwd_len425_factors_17_5_5_wgs_51_tpt_17_halfLds_half_op_CI_CI_sbrr_dirReg,@function
fft_rtc_fwd_len425_factors_17_5_5_wgs_51_tpt_17_halfLds_half_op_CI_CI_sbrr_dirReg: ; @fft_rtc_fwd_len425_factors_17_5_5_wgs_51_tpt_17_halfLds_half_op_CI_CI_sbrr_dirReg
; %bb.0:
	s_load_dwordx4 s[12:15], s[0:1], 0x18
	s_load_dwordx4 s[8:11], s[0:1], 0x0
	;; [unrolled: 1-line block ×3, first 2 shown]
	v_mul_u32_u24_e32 v1, 0xf10, v0
	v_lshrrev_b32_e32 v2, 16, v1
	s_waitcnt lgkmcnt(0)
	s_load_dwordx2 s[18:19], s[12:13], 0x0
	s_load_dwordx2 s[16:17], s[14:15], 0x0
	v_mad_u64_u32 v[2:3], s[2:3], s2, 3, v[2:3]
	v_mov_b32_e32 v10, 0
	v_mov_b32_e32 v3, v10
	v_cmp_lt_u64_e64 s[2:3], s[10:11], 2
	v_mov_b64_e32 v[6:7], 0
	s_and_b64 vcc, exec, s[2:3]
	v_mov_b64_e32 v[8:9], v[6:7]
	v_mov_b64_e32 v[4:5], v[2:3]
	s_cbranch_vccnz .LBB0_8
; %bb.1:
	s_load_dwordx2 s[2:3], s[0:1], 0x10
	s_add_u32 s20, s14, 8
	s_addc_u32 s21, s15, 0
	s_add_u32 s22, s12, 8
	s_addc_u32 s23, s13, 0
	s_waitcnt lgkmcnt(0)
	s_add_u32 s24, s2, 8
	v_mov_b64_e32 v[6:7], 0
	s_addc_u32 s25, s3, 0
	s_mov_b64 s[26:27], 1
	v_mov_b64_e32 v[8:9], v[6:7]
	v_mov_b64_e32 v[12:13], v[2:3]
.LBB0_2:                                ; =>This Inner Loop Header: Depth=1
	s_load_dwordx2 s[28:29], s[24:25], 0x0
                                        ; implicit-def: $vgpr4_vgpr5
	s_waitcnt lgkmcnt(0)
	v_or_b32_e32 v11, s29, v13
	v_cmp_ne_u64_e32 vcc, 0, v[10:11]
	s_and_saveexec_b64 s[2:3], vcc
	s_xor_b64 s[30:31], exec, s[2:3]
	s_cbranch_execz .LBB0_4
; %bb.3:                                ;   in Loop: Header=BB0_2 Depth=1
	v_cvt_f32_u32_e32 v1, s28
	v_cvt_f32_u32_e32 v3, s29
	s_sub_u32 s2, 0, s28
	s_subb_u32 s3, 0, s29
	v_fmac_f32_e32 v1, 0x4f800000, v3
	v_rcp_f32_e32 v1, v1
	s_nop 0
	v_mul_f32_e32 v1, 0x5f7ffffc, v1
	v_mul_f32_e32 v3, 0x2f800000, v1
	v_trunc_f32_e32 v3, v3
	v_fmac_f32_e32 v1, 0xcf800000, v3
	v_cvt_u32_f32_e32 v3, v3
	v_cvt_u32_f32_e32 v1, v1
	v_mul_lo_u32 v4, s2, v3
	v_mul_hi_u32 v11, s2, v1
	v_mul_lo_u32 v5, s3, v1
	v_add_u32_e32 v11, v11, v4
	v_mul_lo_u32 v16, s2, v1
	v_add_u32_e32 v11, v11, v5
	v_mul_hi_u32 v4, v1, v16
	v_mul_hi_u32 v15, v1, v11
	v_mul_lo_u32 v14, v1, v11
	v_mov_b32_e32 v5, v10
	v_lshl_add_u64 v[4:5], v[4:5], 0, v[14:15]
	v_mul_hi_u32 v15, v3, v16
	v_mul_lo_u32 v16, v3, v16
	v_add_co_u32_e32 v4, vcc, v4, v16
	v_mul_hi_u32 v14, v3, v11
	s_nop 0
	v_addc_co_u32_e32 v4, vcc, v5, v15, vcc
	v_mov_b32_e32 v5, v10
	s_nop 0
	v_addc_co_u32_e32 v15, vcc, 0, v14, vcc
	v_mul_lo_u32 v14, v3, v11
	v_lshl_add_u64 v[4:5], v[4:5], 0, v[14:15]
	v_add_co_u32_e32 v1, vcc, v1, v4
	v_mul_lo_u32 v14, s2, v1
	s_nop 0
	v_addc_co_u32_e32 v3, vcc, v3, v5, vcc
	v_mul_lo_u32 v4, s2, v3
	v_mul_hi_u32 v5, s2, v1
	v_add_u32_e32 v4, v5, v4
	v_mul_lo_u32 v5, s3, v1
	v_add_u32_e32 v11, v4, v5
	v_mul_hi_u32 v17, v3, v14
	v_mul_lo_u32 v18, v3, v14
	v_mul_hi_u32 v5, v1, v11
	v_mul_lo_u32 v4, v1, v11
	v_mul_hi_u32 v14, v1, v14
	v_mov_b32_e32 v15, v10
	v_lshl_add_u64 v[4:5], v[14:15], 0, v[4:5]
	v_add_co_u32_e32 v4, vcc, v4, v18
	v_mul_hi_u32 v16, v3, v11
	s_nop 0
	v_addc_co_u32_e32 v4, vcc, v5, v17, vcc
	v_mul_lo_u32 v14, v3, v11
	s_nop 0
	v_addc_co_u32_e32 v15, vcc, 0, v16, vcc
	v_mov_b32_e32 v5, v10
	v_lshl_add_u64 v[4:5], v[4:5], 0, v[14:15]
	v_add_co_u32_e32 v1, vcc, v1, v4
	v_mul_hi_u32 v14, v12, v1
	s_nop 0
	v_addc_co_u32_e32 v3, vcc, v3, v5, vcc
	v_mad_u64_u32 v[4:5], s[2:3], v12, v3, 0
	v_mov_b32_e32 v15, v10
	v_lshl_add_u64 v[4:5], v[14:15], 0, v[4:5]
	v_mad_u64_u32 v[16:17], s[2:3], v13, v1, 0
	v_add_co_u32_e32 v1, vcc, v4, v16
	v_mad_u64_u32 v[14:15], s[2:3], v13, v3, 0
	s_nop 0
	v_addc_co_u32_e32 v4, vcc, v5, v17, vcc
	v_mov_b32_e32 v5, v10
	s_nop 0
	v_addc_co_u32_e32 v15, vcc, 0, v15, vcc
	v_lshl_add_u64 v[4:5], v[4:5], 0, v[14:15]
	v_mul_lo_u32 v1, s29, v4
	v_mul_lo_u32 v3, s28, v5
	v_mad_u64_u32 v[14:15], s[2:3], s28, v4, 0
	v_add3_u32 v1, v15, v3, v1
	v_sub_u32_e32 v3, v13, v1
	v_mov_b32_e32 v11, s29
	v_sub_co_u32_e32 v18, vcc, v12, v14
	v_lshl_add_u64 v[16:17], v[4:5], 0, 1
	s_nop 0
	v_subb_co_u32_e64 v3, s[2:3], v3, v11, vcc
	v_subrev_co_u32_e64 v11, s[2:3], s28, v18
	v_subb_co_u32_e32 v1, vcc, v13, v1, vcc
	s_nop 0
	v_subbrev_co_u32_e64 v3, s[2:3], 0, v3, s[2:3]
	v_cmp_le_u32_e64 s[2:3], s29, v3
	v_cmp_le_u32_e32 vcc, s29, v1
	s_nop 0
	v_cndmask_b32_e64 v14, 0, -1, s[2:3]
	v_cmp_le_u32_e64 s[2:3], s28, v11
	s_nop 1
	v_cndmask_b32_e64 v11, 0, -1, s[2:3]
	v_cmp_eq_u32_e64 s[2:3], s29, v3
	s_nop 1
	v_cndmask_b32_e64 v3, v14, v11, s[2:3]
	v_lshl_add_u64 v[14:15], v[4:5], 0, 2
	v_cmp_ne_u32_e64 s[2:3], 0, v3
	v_cndmask_b32_e64 v11, 0, -1, vcc
	v_cmp_le_u32_e32 vcc, s28, v18
	v_cndmask_b32_e64 v3, v17, v15, s[2:3]
	s_nop 0
	v_cndmask_b32_e64 v15, 0, -1, vcc
	v_cmp_eq_u32_e32 vcc, s29, v1
	s_nop 1
	v_cndmask_b32_e32 v1, v11, v15, vcc
	v_cmp_ne_u32_e32 vcc, 0, v1
	v_cndmask_b32_e64 v1, v16, v14, s[2:3]
	s_nop 0
	v_cndmask_b32_e32 v5, v5, v3, vcc
	v_cndmask_b32_e32 v4, v4, v1, vcc
.LBB0_4:                                ;   in Loop: Header=BB0_2 Depth=1
	s_andn2_saveexec_b64 s[2:3], s[30:31]
	s_cbranch_execz .LBB0_6
; %bb.5:                                ;   in Loop: Header=BB0_2 Depth=1
	v_cvt_f32_u32_e32 v1, s28
	s_sub_i32 s30, 0, s28
	v_rcp_iflag_f32_e32 v1, v1
	s_nop 0
	v_mul_f32_e32 v1, 0x4f7ffffe, v1
	v_cvt_u32_f32_e32 v1, v1
	v_mul_lo_u32 v3, s30, v1
	v_mul_hi_u32 v3, v1, v3
	v_add_u32_e32 v1, v1, v3
	v_mul_hi_u32 v1, v12, v1
	v_mul_lo_u32 v3, v1, s28
	v_sub_u32_e32 v3, v12, v3
	v_add_u32_e32 v4, 1, v1
	v_subrev_u32_e32 v5, s28, v3
	v_cmp_le_u32_e32 vcc, s28, v3
	s_nop 1
	v_cndmask_b32_e32 v3, v3, v5, vcc
	v_cndmask_b32_e32 v1, v1, v4, vcc
	v_add_u32_e32 v4, 1, v1
	v_cmp_le_u32_e32 vcc, s28, v3
	v_mov_b32_e32 v5, v10
	s_nop 0
	v_cndmask_b32_e32 v4, v1, v4, vcc
.LBB0_6:                                ;   in Loop: Header=BB0_2 Depth=1
	s_or_b64 exec, exec, s[2:3]
	v_mad_u64_u32 v[14:15], s[2:3], v4, s28, 0
	s_load_dwordx2 s[2:3], s[22:23], 0x0
	s_add_u32 s26, s26, 1
	v_mul_lo_u32 v1, v5, s28
	v_mul_lo_u32 v3, v4, s29
	s_load_dwordx2 s[28:29], s[20:21], 0x0
	s_addc_u32 s27, s27, 0
	v_add3_u32 v1, v15, v3, v1
	v_sub_co_u32_e32 v3, vcc, v12, v14
	s_add_u32 s20, s20, 8
	s_nop 0
	v_subb_co_u32_e32 v1, vcc, v13, v1, vcc
	s_addc_u32 s21, s21, 0
	s_waitcnt lgkmcnt(0)
	v_mul_lo_u32 v11, s2, v1
	v_mul_lo_u32 v12, s3, v3
	v_mad_u64_u32 v[6:7], s[2:3], s2, v3, v[6:7]
	s_add_u32 s22, s22, 8
	v_add3_u32 v7, v12, v7, v11
	s_addc_u32 s23, s23, 0
	v_mov_b64_e32 v[12:13], s[10:11]
	v_mul_lo_u32 v1, s28, v1
	v_mul_lo_u32 v11, s29, v3
	v_mad_u64_u32 v[8:9], s[2:3], s28, v3, v[8:9]
	s_add_u32 s24, s24, 8
	v_cmp_ge_u64_e32 vcc, s[26:27], v[12:13]
	v_add3_u32 v9, v11, v9, v1
	s_addc_u32 s25, s25, 0
	s_cbranch_vccnz .LBB0_8
; %bb.7:                                ;   in Loop: Header=BB0_2 Depth=1
	v_mov_b64_e32 v[12:13], v[4:5]
	s_branch .LBB0_2
.LBB0_8:
	s_load_dwordx2 s[0:1], s[0:1], 0x28
	s_lshl_b64 s[20:21], s[10:11], 3
	s_add_u32 s2, s14, s20
	s_addc_u32 s3, s15, s21
                                        ; implicit-def: $sgpr14
                                        ; implicit-def: $vgpr14
	s_waitcnt lgkmcnt(0)
	v_cmp_gt_u64_e32 vcc, s[0:1], v[4:5]
	v_cmp_le_u64_e64 s[0:1], s[0:1], v[4:5]
	s_and_saveexec_b64 s[10:11], s[0:1]
	s_xor_b64 s[0:1], exec, s[10:11]
; %bb.9:
	s_mov_b32 s10, 0xf0f0f10
	v_mul_hi_u32 v1, v0, s10
	v_mul_u32_u24_e32 v1, 17, v1
	v_sub_u32_e32 v14, v0, v1
	s_mov_b32 s14, 0
                                        ; implicit-def: $vgpr0
                                        ; implicit-def: $vgpr6_vgpr7
; %bb.10:
	s_or_saveexec_b64 s[10:11], s[0:1]
	s_load_dwordx2 s[2:3], s[2:3], 0x0
	v_mov_b32_e32 v3, s14
	v_mov_b32_e32 v59, s14
                                        ; implicit-def: $vgpr1
                                        ; implicit-def: $vgpr60
                                        ; implicit-def: $vgpr68
                                        ; implicit-def: $vgpr38
                                        ; implicit-def: $vgpr67
                                        ; implicit-def: $vgpr36
                                        ; implicit-def: $vgpr66
                                        ; implicit-def: $vgpr33
                                        ; implicit-def: $vgpr65
                                        ; implicit-def: $vgpr31
                                        ; implicit-def: $vgpr64
                                        ; implicit-def: $vgpr27
                                        ; implicit-def: $vgpr63
                                        ; implicit-def: $vgpr18
                                        ; implicit-def: $vgpr62
                                        ; implicit-def: $vgpr15
                                        ; implicit-def: $vgpr61
                                        ; implicit-def: $vgpr44
                                        ; implicit-def: $vgpr48
                                        ; implicit-def: $vgpr19
                                        ; implicit-def: $vgpr45
                                        ; implicit-def: $vgpr17
                                        ; implicit-def: $vgpr43
                                        ; implicit-def: $vgpr16
                                        ; implicit-def: $vgpr41
                                        ; implicit-def: $vgpr13
                                        ; implicit-def: $vgpr37
                                        ; implicit-def: $vgpr12
                                        ; implicit-def: $vgpr32
                                        ; implicit-def: $vgpr11
                                        ; implicit-def: $vgpr28
                                        ; implicit-def: $vgpr10
                                        ; implicit-def: $vgpr24
                                        ; implicit-def: $vgpr20
                                        ; implicit-def: $vgpr50
                                        ; implicit-def: $vgpr47
                                        ; implicit-def: $vgpr49
                                        ; implicit-def: $vgpr40
                                        ; implicit-def: $vgpr46
                                        ; implicit-def: $vgpr34
                                        ; implicit-def: $vgpr42
                                        ; implicit-def: $vgpr29
                                        ; implicit-def: $vgpr39
                                        ; implicit-def: $vgpr25
                                        ; implicit-def: $vgpr35
                                        ; implicit-def: $vgpr23
                                        ; implicit-def: $vgpr30
                                        ; implicit-def: $vgpr22
                                        ; implicit-def: $vgpr26
                                        ; implicit-def: $vgpr21
                                        ; implicit-def: $vgpr76
                                        ; implicit-def: $vgpr58
                                        ; implicit-def: $vgpr75
                                        ; implicit-def: $vgpr57
                                        ; implicit-def: $vgpr74
                                        ; implicit-def: $vgpr56
                                        ; implicit-def: $vgpr73
                                        ; implicit-def: $vgpr55
                                        ; implicit-def: $vgpr72
                                        ; implicit-def: $vgpr54
                                        ; implicit-def: $vgpr71
                                        ; implicit-def: $vgpr53
                                        ; implicit-def: $vgpr70
                                        ; implicit-def: $vgpr52
                                        ; implicit-def: $vgpr69
                                        ; implicit-def: $vgpr51
	s_xor_b64 exec, exec, s[10:11]
	s_cbranch_execz .LBB0_14
; %bb.11:
	s_add_u32 s0, s12, s20
	s_addc_u32 s1, s13, s21
	s_load_dwordx2 s[0:1], s[0:1], 0x0
	s_mov_b32 s12, 0xf0f0f10
	v_mov_b32_e32 v59, 0
                                        ; implicit-def: $vgpr30
                                        ; implicit-def: $vgpr39
                                        ; implicit-def: $vgpr42
                                        ; implicit-def: $vgpr46
                                        ; implicit-def: $vgpr40
                                        ; implicit-def: $vgpr49
                                        ; implicit-def: $vgpr47
                                        ; implicit-def: $vgpr50
                                        ; implicit-def: $vgpr32
                                        ; implicit-def: $vgpr37
                                        ; implicit-def: $vgpr41
                                        ; implicit-def: $vgpr43
                                        ; implicit-def: $vgpr45
                                        ; implicit-def: $vgpr48
	s_waitcnt lgkmcnt(0)
	v_mul_lo_u32 v1, s1, v4
	v_mul_lo_u32 v3, s0, v5
	v_mad_u64_u32 v[10:11], s[0:1], s0, v4, 0
	v_add3_u32 v11, v11, v3, v1
	v_mul_hi_u32 v1, v0, s12
	v_mul_u32_u24_e32 v1, 17, v1
	v_sub_u32_e32 v14, v0, v1
	v_mad_u64_u32 v[12:13], s[0:1], s18, v14, 0
	v_mov_b32_e32 v0, v13
	v_mad_u64_u32 v[0:1], s[0:1], s19, v14, v[0:1]
	v_mov_b32_e32 v13, v0
	v_lshl_add_u64 v[0:1], v[10:11], 2, s[4:5]
	v_add_u32_e32 v3, 25, v14
	v_lshl_add_u64 v[0:1], v[6:7], 2, v[0:1]
	v_mad_u64_u32 v[10:11], s[0:1], s18, v3, 0
	v_lshl_add_u64 v[6:7], v[12:13], 2, v[0:1]
	v_mov_b32_e32 v12, v11
	v_mad_u64_u32 v[12:13], s[0:1], s19, v3, v[12:13]
	v_add_u32_e32 v3, 50, v14
	v_mov_b32_e32 v11, v12
	v_mad_u64_u32 v[12:13], s[0:1], s18, v3, 0
	v_mov_b32_e32 v16, v13
	v_mad_u64_u32 v[16:17], s[0:1], s19, v3, v[16:17]
	v_add_u32_e32 v3, 0x4b, v14
	v_mov_b32_e32 v13, v16
	v_mad_u64_u32 v[16:17], s[0:1], s18, v3, 0
	;; [unrolled: 5-line block ×3, first 2 shown]
	v_mov_b32_e32 v20, v19
	v_mad_u64_u32 v[20:21], s[0:1], s19, v3, v[20:21]
	v_mov_b32_e32 v19, v20
	v_add_u32_e32 v3, 0x7d, v14
	v_lshl_add_u64 v[20:21], v[18:19], 2, v[0:1]
	v_mad_u64_u32 v[18:19], s[0:1], s18, v3, 0
	v_mov_b32_e32 v22, v19
	v_mad_u64_u32 v[22:23], s[0:1], s19, v3, v[22:23]
	v_mov_b32_e32 v19, v22
	v_add_u32_e32 v3, 0x96, v14
	v_lshl_add_u64 v[22:23], v[18:19], 2, v[0:1]
	v_mad_u64_u32 v[18:19], s[0:1], s18, v3, 0
	;; [unrolled: 6-line block ×3, first 2 shown]
	v_mov_b32_e32 v26, v19
	v_mad_u64_u32 v[26:27], s[0:1], s19, v3, v[26:27]
	v_mov_b32_e32 v19, v26
	v_lshl_add_u64 v[10:11], v[10:11], 2, v[0:1]
	v_lshl_add_u64 v[12:13], v[12:13], 2, v[0:1]
	;; [unrolled: 1-line block ×4, first 2 shown]
	global_load_dword v60, v[6:7], off
	global_load_dword v38, v[10:11], off
	;; [unrolled: 1-line block ×8, first 2 shown]
	v_add_u32_e32 v3, 0xc8, v14
	v_mad_u64_u32 v[6:7], s[0:1], s18, v3, 0
	v_mov_b32_e32 v10, v7
	v_mad_u64_u32 v[10:11], s[0:1], s19, v3, v[10:11]
	v_add_u32_e32 v3, 0xe1, v14
	v_mov_b32_e32 v7, v10
	v_mad_u64_u32 v[10:11], s[0:1], s18, v3, 0
	v_mov_b32_e32 v12, v11
	v_mad_u64_u32 v[12:13], s[0:1], s19, v3, v[12:13]
	v_add_u32_e32 v3, 0xfa, v14
	v_mov_b32_e32 v11, v12
	;; [unrolled: 5-line block ×6, first 2 shown]
	v_mad_u64_u32 v[24:25], s[0:1], s18, v3, 0
	v_mov_b32_e32 v26, v25
	v_lshl_add_u64 v[6:7], v[6:7], 2, v[0:1]
	v_lshl_add_u64 v[10:11], v[10:11], 2, v[0:1]
	;; [unrolled: 1-line block ×6, first 2 shown]
                                        ; implicit-def: $vgpr19
	s_waitcnt vmcnt(2)
	v_mad_u64_u32 v[28:29], s[0:1], s19, v3, v[26:27]
	v_add_u32_e32 v3, 0x177, v14
	v_mov_b32_e32 v25, v28
	v_mad_u64_u32 v[28:29], s[0:1], s18, v3, 0
	v_mov_b32_e32 v26, v29
	v_mad_u64_u32 v[34:35], s[0:1], s19, v3, v[26:27]
	v_mov_b32_e32 v29, v34
	v_lshl_add_u64 v[24:25], v[24:25], 2, v[0:1]
	v_lshl_add_u64 v[28:29], v[28:29], 2, v[0:1]
	global_load_dword v44, v[6:7], off
	global_load_dword v51, v[10:11], off
	;; [unrolled: 1-line block ×8, first 2 shown]
	v_add_u32_e32 v3, 0x190, v14
	v_mad_u64_u32 v[6:7], s[0:1], s18, v3, 0
	v_mov_b32_e32 v10, v7
	v_mad_u64_u32 v[10:11], s[0:1], s19, v3, v[10:11]
	v_mov_b32_e32 v7, v10
	v_lshl_add_u64 v[6:7], v[6:7], 2, v[0:1]
	global_load_dword v58, v[6:7], off
	v_cmp_gt_u32_e64 s[0:1], 8, v14
	v_mov_b32_e32 v3, 0
                                        ; implicit-def: $vgpr21
                                        ; implicit-def: $vgpr26
                                        ; implicit-def: $vgpr22
                                        ; implicit-def: $vgpr23
                                        ; implicit-def: $vgpr35
                                        ; implicit-def: $vgpr25
                                        ; implicit-def: $vgpr29
                                        ; implicit-def: $vgpr34
                                        ; implicit-def: $vgpr20
                                        ; implicit-def: $vgpr24
                                        ; implicit-def: $vgpr10
                                        ; implicit-def: $vgpr28
                                        ; implicit-def: $vgpr11
                                        ; implicit-def: $vgpr12
                                        ; implicit-def: $vgpr13
                                        ; implicit-def: $vgpr16
                                        ; implicit-def: $vgpr17
	s_and_saveexec_b64 s[4:5], s[0:1]
	s_cbranch_execz .LBB0_13
; %bb.12:
	v_add_u32_e32 v3, 17, v14
	v_mad_u64_u32 v[6:7], s[0:1], s18, v3, 0
	v_mov_b32_e32 v10, v7
	v_mad_u64_u32 v[10:11], s[0:1], s19, v3, v[10:11]
	v_add_u32_e32 v3, 42, v14
	v_mov_b32_e32 v7, v10
	v_mad_u64_u32 v[10:11], s[0:1], s18, v3, 0
	v_mov_b32_e32 v12, v11
	v_mad_u64_u32 v[12:13], s[0:1], s19, v3, v[12:13]
	v_mov_b32_e32 v11, v12
	v_add_u32_e32 v3, 0x43, v14
	v_lshl_add_u64 v[20:21], v[10:11], 2, v[0:1]
	v_mad_u64_u32 v[10:11], s[0:1], s18, v3, 0
	v_mov_b32_e32 v12, v11
	v_mad_u64_u32 v[12:13], s[0:1], s19, v3, v[12:13]
	v_mov_b32_e32 v11, v12
	v_add_u32_e32 v3, 0x5c, v14
	v_lshl_add_u64 v[22:23], v[10:11], 2, v[0:1]
	;; [unrolled: 6-line block ×5, first 2 shown]
	v_mad_u64_u32 v[10:11], s[0:1], s18, v3, 0
	v_mov_b32_e32 v12, v11
	v_mad_u64_u32 v[12:13], s[0:1], s19, v3, v[12:13]
	v_mov_b32_e32 v11, v12
	v_or_b32_e32 v3, 0xc0, v14
	v_lshl_add_u64 v[40:41], v[10:11], 2, v[0:1]
	v_mad_u64_u32 v[10:11], s[0:1], s18, v3, 0
	v_mov_b32_e32 v12, v11
	v_mad_u64_u32 v[12:13], s[0:1], s19, v3, v[12:13]
	v_lshl_add_u64 v[6:7], v[6:7], 2, v[0:1]
	v_mov_b32_e32 v11, v12
	v_add_u32_e32 v3, 0xd9, v14
	v_lshl_add_u64 v[42:43], v[10:11], 2, v[0:1]
	global_load_dword v59, v[6:7], off
	global_load_dword v19, v[20:21], off
	global_load_dword v17, v[22:23], off
	global_load_dword v16, v[24:25], off
	global_load_dword v13, v[28:29], off
	global_load_dword v12, v[34:35], off
	global_load_dword v11, v[40:41], off
	global_load_dword v10, v[42:43], off
	v_mad_u64_u32 v[6:7], s[0:1], s18, v3, 0
	v_mov_b32_e32 v20, v7
	v_mad_u64_u32 v[20:21], s[0:1], s19, v3, v[20:21]
	v_add_u32_e32 v3, 0xf2, v14
	v_mov_b32_e32 v7, v20
	v_mad_u64_u32 v[20:21], s[0:1], s18, v3, 0
	v_mov_b32_e32 v22, v21
	v_mad_u64_u32 v[22:23], s[0:1], s19, v3, v[22:23]
	v_mov_b32_e32 v21, v22
	v_add_u32_e32 v3, 0x10b, v14
	v_lshl_add_u64 v[42:43], v[20:21], 2, v[0:1]
	v_mad_u64_u32 v[20:21], s[0:1], s18, v3, 0
	v_mov_b32_e32 v22, v21
	v_mad_u64_u32 v[22:23], s[0:1], s19, v3, v[22:23]
	v_mov_b32_e32 v21, v22
	v_add_u32_e32 v3, 0x124, v14
	v_lshl_add_u64 v[46:47], v[20:21], 2, v[0:1]
	;; [unrolled: 6-line block ×5, first 2 shown]
	v_mad_u64_u32 v[20:21], s[0:1], s18, v3, 0
	v_mov_b32_e32 v22, v21
	v_mad_u64_u32 v[22:23], s[0:1], s19, v3, v[22:23]
	v_mov_b32_e32 v21, v22
	v_or_b32_e32 v3, 0x188, v14
	v_lshl_add_u64 v[66:67], v[20:21], 2, v[0:1]
	v_mad_u64_u32 v[20:21], s[0:1], s18, v3, 0
	v_mov_b32_e32 v22, v21
	v_mad_u64_u32 v[22:23], s[0:1], s19, v3, v[22:23]
	v_lshl_add_u64 v[6:7], v[6:7], 2, v[0:1]
	v_mov_b32_e32 v21, v22
	v_lshl_add_u64 v[68:69], v[20:21], 2, v[0:1]
	global_load_dword v20, v[6:7], off
	global_load_dword v21, v[42:43], off
	;; [unrolled: 1-line block ×8, first 2 shown]
	v_add_u32_e32 v3, 0x1a1, v14
	v_mad_u64_u32 v[6:7], s[0:1], s18, v3, 0
	v_mov_b32_e32 v24, v7
	s_waitcnt vmcnt(14)
	v_lshrrev_b32_e32 v48, 16, v19
	s_waitcnt vmcnt(13)
	v_lshrrev_b32_e32 v45, 16, v17
	s_waitcnt vmcnt(11)
	v_lshrrev_b32_e32 v41, 16, v13
	s_waitcnt vmcnt(10)
	v_lshrrev_b32_e32 v37, 16, v12
	s_waitcnt vmcnt(9)
	v_lshrrev_b32_e32 v32, 16, v11
	s_waitcnt vmcnt(8)
	v_lshrrev_b32_e32 v28, 16, v10
	s_waitcnt vmcnt(6)
	v_lshrrev_b32_e32 v26, 16, v21
	s_waitcnt vmcnt(5)
	v_lshrrev_b32_e32 v30, 16, v22
	s_waitcnt vmcnt(4)
	v_lshrrev_b32_e32 v35, 16, v23
	s_waitcnt vmcnt(3)
	v_mad_u64_u32 v[42:43], s[0:1], s19, v3, v[24:25]
	v_mov_b32_e32 v7, v42
	v_lshl_add_u64 v[0:1], v[6:7], 2, v[0:1]
	global_load_dword v47, v[0:1], off
	v_lshrrev_b32_e32 v3, 16, v59
	v_lshrrev_b32_e32 v43, 16, v16
	;; [unrolled: 1-line block ×4, first 2 shown]
	s_waitcnt vmcnt(3)
	v_lshrrev_b32_e32 v42, 16, v29
	s_waitcnt vmcnt(2)
	v_lshrrev_b32_e32 v46, 16, v34
	;; [unrolled: 2-line block ×4, first 2 shown]
.LBB0_13:
	s_or_b64 exec, exec, s[4:5]
	v_lshrrev_b32_e32 v1, 16, v60
	v_lshrrev_b32_e32 v68, 16, v38
	;; [unrolled: 1-line block ×6, first 2 shown]
	s_waitcnt vmcnt(10)
	v_lshrrev_b32_e32 v63, 16, v18
	s_waitcnt vmcnt(9)
	v_lshrrev_b32_e32 v62, 16, v15
	;; [unrolled: 2-line block ×11, first 2 shown]
.LBB0_14:
	s_or_b64 exec, exec, s[10:11]
	s_mov_b32 s0, 0xaaaaaaab
	v_mul_hi_u32 v0, v2, s0
	v_lshrrev_b32_e32 v0, 1, v0
	v_sub_f16_e32 v7, v68, v76
	v_lshl_add_u32 v0, v0, 1, v0
	v_add_f16_e32 v6, v58, v38
	s_mov_b32 s12, 0xb461
	v_mul_f16_e32 v77, 0xbbb2, v7
	v_sub_f16_e32 v83, v67, v75
	v_sub_u32_e32 v0, v2, v0
	v_fma_f16 v2, v6, s12, -v77
	v_add_f16_e32 v82, v57, v36
	s_mov_b32 s13, 0xbacd
	v_mul_f16_e32 v84, 0x3836, v83
	v_sub_f16_e32 v86, v66, v74
	v_add_f16_e32 v2, v2, v60
	v_fma_f16 v78, v82, s13, -v84
	v_add_f16_e32 v85, v56, v33
	s_movk_i32 s15, 0x39e9
	v_mul_f16_e32 v87, 0x3964, v86
	v_sub_f16_e32 v89, v65, v73
	v_add_f16_e32 v2, v2, v78
	v_fma_f16 v78, v85, s15, -v87
	v_add_f16_e32 v88, v55, v31
	s_movk_i32 s18, 0x3722
	v_mul_f16_e32 v90, 0xbb29, v89
	v_sub_f16_e32 v92, v64, v72
	s_mov_b32 s19, 0xbbdd
	v_add_f16_e32 v2, v2, v78
	v_fma_f16 v78, v88, s18, -v90
	v_add_f16_e32 v91, v54, v27
	v_mul_f16_e32 v93, 0xb1e1, v92
	v_sub_f16_e32 v95, v63, v71
	v_add_f16_e32 v2, v2, v78
	v_fma_f16 v78, v91, s19, -v93
	v_add_f16_e32 v94, v53, v18
	s_movk_i32 s10, 0x2de8
	v_mul_f16_e32 v96, 0x3bf7, v95
	v_sub_f16_e32 v98, v62, v70
	s_movk_i32 s14, 0x3b76
	v_add_f16_e32 v2, v2, v78
	v_fma_f16 v78, v94, s10, -v96
	v_add_f16_e32 v97, v52, v15
	v_mul_f16_e32 v99, 0xb5c8, v98
	v_sub_f16_e32 v101, v61, v69
	s_mov_b32 s11, 0xb8d2
	v_add_f16_e32 v2, v2, v78
	v_fma_f16 v78, v97, s14, -v99
	v_add_f16_e32 v100, v51, v44
	v_mul_f16_e32 v102, 0xba62, v101
	s_mov_b32 s39, 0xb964b5c8
	v_add_f16_e32 v2, v2, v78
	v_fma_f16 v78, v100, s11, -v102
	s_mov_b32 s37, 0x39e93b76
	v_pk_mul_f16 v103, v7, s39 op_sel_hi:[0,1]
	s_mov_b32 s41, 0xbbf7b964
	v_add_f16_e32 v2, v2, v78
	v_pk_fma_f16 v78, v6, s37, v103 op_sel_hi:[0,1,1] neg_lo:[0,0,1] neg_hi:[0,0,1]
	s_mov_b32 s38, 0x2de839e9
	v_pk_mul_f16 v104, v83, s41 op_sel_hi:[0,1]
	s_mov_b32 s43, 0xba62bb29
	v_pk_add_f16 v78, v78, v60 op_sel_hi:[1,0]
	v_pk_fma_f16 v79, v82, s38, v104 op_sel_hi:[0,1,1] neg_lo:[0,0,1] neg_hi:[0,0,1]
	s_mov_b32 s40, 0xb8d23722
	v_pk_mul_f16 v105, v86, s43 op_sel_hi:[0,1]
	s_mov_b32 s45, 0xb1e1bbf7
	v_pk_add_f16 v78, v78, v79
	v_pk_fma_f16 v79, v85, s40, v105 op_sel_hi:[0,1,1] neg_lo:[0,0,1] neg_hi:[0,0,1]
	s_mov_b32 s42, 0xbbdd2de8
	v_pk_mul_f16 v106, v89, s45 op_sel_hi:[0,1]
	s_mov_b32 s47, 0x3836bbb2
	v_pk_add_f16 v78, v78, v79
	;; [unrolled: 5-line block ×7, first 2 shown]
	v_pk_fma_f16 v79, v6, s52, v111 op_sel_hi:[0,1,1] neg_lo:[0,0,1] neg_hi:[0,0,1]
	s_mov_b32 s54, 0xbbddb8d2
	v_pk_mul_f16 v112, v83, s57 op_sel_hi:[0,1]
	s_mov_b32 s59, 0x3bb231e1
	v_pk_add_f16 v79, v79, v60 op_sel_hi:[1,0]
	v_pk_fma_f16 v80, v82, s54, v112 op_sel_hi:[0,1,1] neg_lo:[0,0,1] neg_hi:[0,0,1]
	s_mov_b32 s56, 0xb461bbdd
	v_pk_mul_f16 v113, v86, s59 op_sel_hi:[0,1]
	s_mov_b32 s61, 0x35c83bb2
	v_pk_add_f16 v79, v79, v80
	v_pk_fma_f16 v80, v85, s56, v113 op_sel_hi:[0,1,1] neg_lo:[0,0,1] neg_hi:[0,0,1]
	s_mov_b32 s58, 0x3b76b461
	v_pk_mul_f16 v114, v89, s61 op_sel_hi:[0,1]
	s_mov_b32 s63, 0xbb293964
	v_pk_add_f16 v79, v79, v80
	;; [unrolled: 5-line block ×7, first 2 shown]
	v_pk_fma_f16 v80, v6, s20, v119 op_sel_hi:[0,1,1] neg_lo:[0,0,1] neg_hi:[0,0,1]
	s_mov_b32 s21, 0x3722b461
	v_pk_mul_f16 v120, v83, s25 op_sel_hi:[0,1]
	s_mov_b32 s27, 0xbbf7b5c8
	v_pk_add_f16 v80, v80, v60 op_sel_hi:[1,0]
	v_pk_fma_f16 v81, v82, s21, v120 op_sel_hi:[0,1,1] neg_lo:[0,0,1] neg_hi:[0,0,1]
	s_mov_b32 s22, 0x2de83b76
	v_pk_mul_f16 v121, v86, s27 op_sel_hi:[0,1]
	s_mov_b32 s29, 0x3a62b836
	v_pk_add_f16 v80, v80, v81
	v_pk_fma_f16 v81, v85, s22, v121 op_sel_hi:[0,1,1] neg_lo:[0,0,1] neg_hi:[0,0,1]
	s_mov_b32 s24, 0xb8d2bacd
	v_pk_mul_f16 v122, v89, s29 op_sel_hi:[0,1]
	s_mov_b32 s31, 0xb5c83bf7
	v_pk_add_f16 v80, v80, v81
	;; [unrolled: 5-line block ×5, first 2 shown]
	v_pk_fma_f16 v81, v97, s30, v125 op_sel_hi:[0,1,1] neg_lo:[0,0,1] neg_hi:[0,0,1]
	s_mov_b32 s34, 0xb4613722
	v_pk_mul_f16 v126, v101, s36 op_sel_hi:[0,1]
	v_pk_add_f16 v80, v80, v81
	v_pk_fma_f16 v81, v100, s34, v126 op_sel_hi:[0,1,1] neg_lo:[0,0,1] neg_hi:[0,0,1]
	v_pk_add_f16 v81, v80, v81
	v_alignbit_b32 v80, v2, v79, 16
	v_add_f16_e32 v2, v60, v38
	v_add_f16_e32 v2, v2, v36
	;; [unrolled: 1-line block ×16, first 2 shown]
	v_alignbit_b32 v79, v79, v78, 16
	v_pack_b32_f16 v78, v2, v78
	v_mul_u32_u24_e32 v0, 0x1a9, v0
	v_mad_u32_u24 v2, v14, 34, 0
	v_lshl_add_u32 v2, v0, 1, v2
	ds_write_b128 v2, v[78:81]
	v_mul_f16_e32 v78, 0xb1e1, v7
	v_fma_f16 v79, v6, s19, -v78
	v_mul_f16_e32 v80, 0x35c8, v83
	v_add_f16_e32 v79, v79, v60
	v_fma_f16 v81, v82, s14, -v80
	v_add_f16_e32 v79, v79, v81
	v_mul_f16_e32 v81, 0xb836, v86
	v_fma_f16 v127, v85, s13, -v81
	v_add_f16_e32 v79, v79, v127
	v_mul_f16_e32 v127, 0x3964, v89
	;; [unrolled: 3-line block ×6, first 2 shown]
	v_fma_f16 v132, v100, s10, -v131
	v_add_f16_e32 v132, v79, v132
	v_fma_f16 v79, v6, s14, v103
	v_add_f16_e32 v79, v79, v60
	v_fma_f16 v103, v82, s15, v104
	;; [unrolled: 2-line block ×8, first 2 shown]
	v_add_f16_e32 v103, v79, v103
	v_pk_mul_f16 v79, v6, s20 op_sel_hi:[0,1]
	s_mov_b32 s69, 0xffff
	v_add_f16_e32 v104, v119, v79
	v_bfi_b32 v78, s69, v78, v119
	v_mul_f16_e32 v119, 0xbbdd, v6
	v_bfi_b32 v79, s69, v119, v79
	v_pk_mul_f16 v105, v82, s21 op_sel_hi:[0,1]
	v_pk_add_f16 v78, v78, v79
	v_bfi_b32 v79, s69, v80, v120
	v_mul_f16_e32 v80, 0x3b76, v82
	v_add_f16_e32 v104, v104, v60
	v_add_f16_e32 v106, v120, v105
	v_bfi_b32 v80, s69, v80, v105
	v_add_f16_e32 v104, v104, v106
	v_pk_mul_f16 v106, v85, s22 op_sel_hi:[0,1]
	v_pk_add_f16 v79, v79, v80
	v_pk_add_f16 v78, v78, v60 op_sel_hi:[1,0]
	v_mul_f16_e32 v80, 0xbacd, v85
	v_add_f16_e32 v107, v121, v106
	v_pk_add_f16 v78, v78, v79
	v_bfi_b32 v79, s69, v81, v121
	v_bfi_b32 v80, s69, v80, v106
	v_add_f16_e32 v104, v104, v107
	v_pk_mul_f16 v107, v88, s24 op_sel_hi:[0,1]
	v_pk_add_f16 v79, v79, v80
	v_mul_f16_e32 v80, 0x39e9, v88
	v_add_f16_e32 v108, v122, v107
	v_pk_add_f16 v78, v78, v79
	v_bfi_b32 v79, s69, v127, v122
	v_bfi_b32 v80, s69, v80, v107
	v_add_f16_e32 v104, v104, v108
	v_pk_mul_f16 v108, v91, s26 op_sel_hi:[0,1]
	v_pk_add_f16 v79, v79, v80
	;; [unrolled: 8-line block ×4, first 2 shown]
	v_mul_f16_e32 v80, 0xb461, v97
	v_pk_add_f16 v78, v78, v79
	v_bfi_b32 v79, s69, v130, v125
	v_bfi_b32 v80, s69, v80, v110
	v_pk_add_f16 v79, v79, v80
	v_pk_mul_f16 v106, v6, s52 op_sel_hi:[0,1]
	v_pk_add_f16 v78, v78, v79
	v_mul_f16_e32 v79, 0xb461, v6
	s_mov_b32 s70, 0x39e93722
	v_add_f16_e32 v133, v125, v110
	v_mul_f16_e32 v105, 0xbacd, v82
	v_bfi_b32 v77, s69, v77, v111
	v_bfi_b32 v79, s69, v79, v106
	v_pk_mul_f16 v107, v82, s54 op_sel_hi:[0,1]
	s_mov_b32 s78, 0xb964bb29
	v_pk_mul_f16 v6, v6, s70 op_sel_hi:[0,1]
	s_mov_b32 s71, 0x2de8b8d2
	v_add_f16_e32 v104, v104, v133
	v_pk_mul_f16 v133, v100, s34 op_sel_hi:[0,1]
	v_mul_f16_e32 v81, 0x2de8, v100
	v_pk_add_f16 v77, v77, v79
	v_bfi_b32 v84, s69, v84, v112
	v_bfi_b32 v105, s69, v105, v107
	v_pk_fma_f16 v6, v7, s78, v6 op_sel_hi:[0,1,1]
	s_mov_b32 s79, 0xbbf7ba62
	v_pk_mul_f16 v7, v82, s71 op_sel_hi:[0,1]
	v_bfi_b32 v80, s69, v131, v126
	v_bfi_b32 v81, s69, v81, v133
	v_pk_add_f16 v84, v84, v105
	v_pk_add_f16 v77, v77, v60 op_sel_hi:[1,0]
	v_pk_add_f16 v6, v6, v60 op_sel_hi:[1,0]
	v_pk_fma_f16 v7, v83, s79, v7 op_sel_hi:[0,1,1]
	s_mov_b32 s72, 0xb8d2bbdd
	v_pk_add_f16 v80, v80, v81
	v_mul_f16_e32 v81, 0x39e9, v85
	v_pk_add_f16 v77, v77, v84
	v_pk_mul_f16 v84, v85, s56 op_sel_hi:[0,1]
	v_pk_add_f16 v6, v6, v7
	s_mov_b32 s80, 0xba6231e1
	v_pk_mul_f16 v7, v85, s72 op_sel_hi:[0,1]
	v_pk_add_f16 v78, v78, v80
	v_mul_f16_e32 v80, 0x3722, v88
	v_bfi_b32 v87, s69, v87, v113
	v_pk_mul_f16 v108, v88, s58 op_sel_hi:[0,1]
	v_bfi_b32 v81, s69, v81, v84
	v_pk_fma_f16 v7, v86, s80, v7 op_sel_hi:[0,1,1]
	s_mov_b32 s73, 0xbbddb461
	v_pk_add_f16 v81, v87, v81
	v_bfi_b32 v90, s69, v90, v114
	v_bfi_b32 v80, s69, v80, v108
	v_pk_add_f16 v6, v6, v7
	s_mov_b32 s81, 0xb1e13bb2
	v_pk_mul_f16 v7, v88, s73 op_sel_hi:[0,1]
	v_mul_f16_e32 v106, 0xbbdd, v91
	v_pk_mul_f16 v84, v91, s60 op_sel_hi:[0,1]
	v_pk_add_f16 v77, v77, v81
	v_pk_add_f16 v80, v90, v80
	v_pk_fma_f16 v7, v89, s81, v7 op_sel_hi:[0,1,1]
	s_mov_b32 s74, 0xbacd39e9
	v_pk_add_f16 v77, v77, v80
	v_bfi_b32 v80, s69, v93, v115
	v_bfi_b32 v84, s69, v106, v84
	v_pk_add_f16 v6, v6, v7
	s_mov_b32 s82, 0x38363964
	v_pk_mul_f16 v7, v91, s74 op_sel_hi:[0,1]
	v_mul_f16_e32 v79, 0x2de8, v94
	v_pk_mul_f16 v87, v94, s62 op_sel_hi:[0,1]
	v_pk_add_f16 v80, v80, v84
	v_pk_fma_f16 v7, v92, s82, v7 op_sel_hi:[0,1,1]
	s_mov_b32 s75, 0xb4613b76
	v_pk_add_f16 v77, v77, v80
	v_bfi_b32 v80, s69, v96, v116
	v_bfi_b32 v79, s69, v79, v87
	v_pk_add_f16 v6, v6, v7
	s_mov_b32 s83, 0x3bb2b5c8
	v_pk_mul_f16 v7, v94, s75 op_sel_hi:[0,1]
	v_mul_f16_e32 v107, 0x3b76, v97
	v_pk_mul_f16 v81, v97, s64 op_sel_hi:[0,1]
	;; [unrolled: 11-line block ×3, first 2 shown]
	v_pk_add_f16 v79, v79, v80
	v_pk_fma_f16 v7, v98, s84, v7 op_sel_hi:[0,1,1]
	s_mov_b32 s77, 0x3b76bacd
	v_add_f16_e32 v134, v126, v133
	v_pk_add_f16 v77, v77, v79
	v_bfi_b32 v79, s69, v102, v118
	v_bfi_b32 v80, s69, v105, v109
	v_pk_add_f16 v6, v6, v7
	s_mov_b32 s85, 0x35c8b836
	v_pk_mul_f16 v7, v100, s77 op_sel_hi:[0,1]
	v_add_f16_e32 v104, v104, v134
	v_pk_add_f16 v79, v79, v80
	v_pk_fma_f16 v7, v101, s85, v7 op_sel_hi:[0,1,1]
	v_pk_add_f16 v80, v77, v79
	v_pk_add_f16 v81, v6, v7
	v_alignbit_b32 v79, v104, v78, 16
	v_pack_b32_f16 v78, v132, v78
	v_cmp_gt_u32_e64 s[0:1], 8, v14
	ds_write_b128 v2, v[78:81] offset:16
	ds_write_b16 v2, v103 offset:32
	s_and_saveexec_b64 s[4:5], s[0:1]
	s_cbranch_execz .LBB0_16
; %bb.15:
	v_sub_f16_e32 v77, v48, v50
	v_add_f16_e32 v7, v19, v47
	v_mul_f16_e32 v82, 0xb1e1, v77
	v_sub_f16_e32 v85, v45, v49
	v_add_f16_e32 v83, v17, v40
	v_mul_f16_e32 v86, 0x35c8, v85
	v_sub_f16_e32 v89, v43, v46
	v_fma_f16 v78, v7, s19, -v82
	v_add_f16_e32 v87, v16, v34
	v_mul_f16_e32 v90, 0xb836, v89
	v_sub_f16_e32 v93, v41, v42
	v_add_f16_e32 v78, v59, v78
	v_fma_f16 v79, v83, s14, -v86
	v_add_f16_e32 v91, v13, v29
	v_mul_f16_e32 v94, 0x3964, v93
	v_sub_f16_e32 v97, v37, v39
	v_add_f16_e32 v78, v78, v79
	;; [unrolled: 5-line block ×5, first 2 shown]
	v_fma_f16 v79, v99, s18, -v102
	v_add_f16_e32 v107, v20, v21
	v_mul_f16_e32 v110, 0x3bf7, v109
	v_add_f16_e32 v78, v78, v79
	v_fma_f16 v79, v103, s12, -v106
	v_add_f16_e32 v78, v78, v79
	v_fma_f16 v79, v107, s10, -v110
	v_mul_f16_e32 v113, 0xbbb2, v77
	v_add_f16_e32 v111, v78, v79
	v_mul_f16_e32 v115, 0x3836, v85
	v_fma_f16 v78, v7, s12, -v113
	v_mul_f16_e32 v117, 0x3964, v89
	v_add_f16_e32 v78, v59, v78
	v_fma_f16 v79, v83, s13, -v115
	v_mul_f16_e32 v119, 0xbb29, v93
	v_add_f16_e32 v78, v78, v79
	;; [unrolled: 3-line block ×6, first 2 shown]
	v_fma_f16 v79, v103, s14, -v125
	v_add_f16_e32 v78, v78, v79
	v_fma_f16 v79, v107, s11, -v127
	v_add_f16_e32 v78, v78, v79
	v_pk_mul_f16 v79, v77, s39 op_sel_hi:[0,1]
	v_pk_mul_f16 v80, v85, s41 op_sel_hi:[0,1]
	v_fma_f16 v133, v7, s14, v79
	v_pk_fma_f16 v79, v7, s37, v79 op_sel_hi:[0,1,1] neg_lo:[0,0,1] neg_hi:[0,0,1]
	v_pk_mul_f16 v81, v89, s43 op_sel_hi:[0,1]
	v_fma_f16 v134, v83, s15, v80
	v_pk_add_f16 v79, v59, v79 op_sel_hi:[0,1]
	v_pk_fma_f16 v80, v83, s38, v80 op_sel_hi:[0,1,1] neg_lo:[0,0,1] neg_hi:[0,0,1]
	v_pk_mul_f16 v128, v93, s45 op_sel_hi:[0,1]
	v_add_f16_e32 v133, v59, v133
	v_pk_add_f16 v79, v79, v80
	v_pk_fma_f16 v80, v87, s40, v81 op_sel_hi:[0,1,1] neg_lo:[0,0,1] neg_hi:[0,0,1]
	v_pk_mul_f16 v129, v97, s47 op_sel_hi:[0,1]
	v_add_f16_e32 v133, v133, v134
	v_fma_f16 v134, v87, s18, v81
	v_pk_add_f16 v79, v79, v80
	v_pk_fma_f16 v80, v91, s42, v128 op_sel_hi:[0,1,1] neg_lo:[0,0,1] neg_hi:[0,0,1]
	v_pk_mul_f16 v130, v101, s49 op_sel_hi:[0,1]
	v_add_f16_e32 v133, v133, v134
	v_fma_f16 v134, v91, s10, v128
	;; [unrolled: 5-line block ×4, first 2 shown]
	v_pk_add_f16 v79, v79, v80
	v_pk_fma_f16 v80, v103, s48, v131 op_sel_hi:[0,1,1] neg_lo:[0,0,1] neg_hi:[0,0,1]
	v_add_f16_e32 v133, v133, v134
	v_fma_f16 v134, v103, s13, v131
	v_pk_add_f16 v79, v79, v80
	v_pk_fma_f16 v80, v107, s50, v132 op_sel_hi:[0,1,1] neg_lo:[0,0,1] neg_hi:[0,0,1]
	v_pk_mul_f16 v130, v77, s55 op_sel_hi:[0,1]
	v_add_f16_e32 v133, v133, v134
	v_fma_f16 v134, v107, s19, v132
	v_pk_add_f16 v128, v79, v80
	v_pk_mul_f16 v132, v85, s57 op_sel_hi:[0,1]
	v_pk_fma_f16 v79, v7, s52, v130 op_sel_hi:[0,1,1] neg_lo:[0,0,1] neg_hi:[0,0,1]
	v_pk_mul_f16 v135, v89, s59 op_sel_hi:[0,1]
	v_pk_add_f16 v79, v59, v79 op_sel_hi:[0,1]
	v_pk_fma_f16 v80, v83, s54, v132 op_sel_hi:[0,1,1] neg_lo:[0,0,1] neg_hi:[0,0,1]
	v_pk_mul_f16 v137, v93, s61 op_sel_hi:[0,1]
	v_pk_add_f16 v79, v79, v80
	v_pk_fma_f16 v80, v87, s56, v135 op_sel_hi:[0,1,1] neg_lo:[0,0,1] neg_hi:[0,0,1]
	v_pk_mul_f16 v139, v97, s63 op_sel_hi:[0,1]
	v_pk_add_f16 v79, v79, v80
	;; [unrolled: 3-line block ×5, first 2 shown]
	v_pk_fma_f16 v80, v103, s64, v143 op_sel_hi:[0,1,1] neg_lo:[0,0,1] neg_hi:[0,0,1]
	v_pk_add_f16 v79, v79, v80
	v_pk_fma_f16 v80, v107, s66, v145 op_sel_hi:[0,1,1] neg_lo:[0,0,1] neg_hi:[0,0,1]
	v_pk_mul_f16 v146, v7, s20 op_sel_hi:[0,1]
	v_pk_mul_f16 v147, v77, s23 op_sel_hi:[0,1]
	v_add_f16_e32 v6, v59, v19
	v_pk_add_f16 v79, v79, v80
	v_pk_mul_f16 v148, v83, s21 op_sel_hi:[0,1]
	v_pk_mul_f16 v149, v85, s25 op_sel_hi:[0,1]
	v_add_f16_e32 v80, v147, v146
	v_add_f16_e32 v6, v6, v17
	v_pk_mul_f16 v150, v87, s22 op_sel_hi:[0,1]
	v_pk_mul_f16 v151, v89, s27 op_sel_hi:[0,1]
	v_add_f16_e32 v80, v59, v80
	v_add_f16_e32 v81, v149, v148
	v_add_f16_e32 v6, v6, v16
	v_pk_mul_f16 v152, v91, s24 op_sel_hi:[0,1]
	v_pk_mul_f16 v153, v93, s29 op_sel_hi:[0,1]
	v_add_f16_e32 v80, v80, v81
	;; [unrolled: 5-line block ×6, first 2 shown]
	v_add_f16_e32 v81, v159, v158
	v_add_f16_e32 v6, v6, v20
	;; [unrolled: 1-line block ×6, first 2 shown]
	v_pk_fma_f16 v80, v7, s20, v147 op_sel_hi:[0,1,1] neg_lo:[0,0,1] neg_hi:[0,0,1]
	v_add_f16_e32 v6, v22, v6
	v_pk_add_f16 v80, v59, v80 op_sel_hi:[0,1]
	v_pk_fma_f16 v81, v83, s21, v149 op_sel_hi:[0,1,1] neg_lo:[0,0,1] neg_hi:[0,0,1]
	v_add_f16_e32 v6, v23, v6
	v_pk_add_f16 v80, v80, v81
	v_pk_fma_f16 v81, v87, s22, v151 op_sel_hi:[0,1,1] neg_lo:[0,0,1] neg_hi:[0,0,1]
	v_add_f16_e32 v6, v25, v6
	v_pk_add_f16 v80, v80, v81
	;; [unrolled: 3-line block ×5, first 2 shown]
	v_pk_fma_f16 v81, v103, s30, v159 op_sel_hi:[0,1,1] neg_lo:[0,0,1] neg_hi:[0,0,1]
	v_add_f16_e32 v6, v47, v6
	v_mul_f16_e32 v60, 0xbbdd, v7
	v_pk_add_f16 v80, v80, v81
	v_pk_fma_f16 v81, v107, s34, v161 op_sel_hi:[0,1,1] neg_lo:[0,0,1] neg_hi:[0,0,1]
	v_mul_f16_e32 v84, 0x3b76, v83
	v_pk_add_f16 v81, v80, v81
	v_alignbit_b32 v80, v78, v79, 16
	v_alignbit_b32 v79, v79, v128, 16
	v_pack_b32_f16 v78, v6, v128
	v_bfi_b32 v6, s69, v82, v147
	v_bfi_b32 v60, s69, v60, v146
	ds_write_b128 v2, v[78:81] offset:578
	v_pk_add_f16 v6, v6, v60
	v_bfi_b32 v60, s69, v86, v149
	v_bfi_b32 v78, s69, v84, v148
	v_mul_f16_e32 v88, 0xbacd, v87
	v_pk_add_f16 v6, v59, v6 op_sel_hi:[0,1]
	v_pk_add_f16 v60, v60, v78
	v_bfi_b32 v78, s69, v88, v150
	v_pk_add_f16 v6, v6, v60
	v_bfi_b32 v60, s69, v90, v151
	v_mul_f16_e32 v92, 0x39e9, v91
	v_pk_add_f16 v60, v60, v78
	v_bfi_b32 v78, s69, v92, v152
	v_pk_add_f16 v6, v6, v60
	v_bfi_b32 v60, s69, v94, v153
	v_mul_f16_e32 v96, 0xb8d2, v95
	v_pk_add_f16 v60, v60, v78
	v_bfi_b32 v78, s69, v96, v154
	v_pk_add_f16 v6, v6, v60
	v_bfi_b32 v60, s69, v98, v155
	v_mul_f16_e32 v100, 0x3722, v99
	v_pk_add_f16 v60, v60, v78
	v_bfi_b32 v78, s69, v100, v156
	v_pk_add_f16 v6, v6, v60
	v_bfi_b32 v60, s69, v102, v157
	v_mul_f16_e32 v104, 0xb461, v103
	v_pk_add_f16 v60, v60, v78
	v_bfi_b32 v78, s69, v104, v158
	v_pk_add_f16 v6, v6, v60
	v_bfi_b32 v60, s69, v106, v159
	v_mul_f16_e32 v108, 0x2de8, v107
	v_pk_add_f16 v60, v60, v78
	v_bfi_b32 v78, s69, v108, v160
	v_pk_add_f16 v6, v6, v60
	v_bfi_b32 v60, s69, v110, v161
	v_mul_f16_e32 v112, 0xb461, v7
	v_pk_mul_f16 v129, v7, s52 op_sel_hi:[0,1]
	v_pk_add_f16 v60, v60, v78
	v_bfi_b32 v78, s69, v112, v129
	v_pk_add_f16 v6, v6, v60
	v_bfi_b32 v60, s69, v113, v130
	v_pk_mul_f16 v7, v7, s70 op_sel_hi:[0,1]
	v_mul_f16_e32 v114, 0xbacd, v83
	v_pk_mul_f16 v131, v83, s54 op_sel_hi:[0,1]
	v_pk_add_f16 v60, v60, v78
	v_pk_fma_f16 v7, v77, s78, v7 op_sel_hi:[0,1,1]
	v_pk_add_f16 v60, v59, v60 op_sel_hi:[0,1]
	v_bfi_b32 v78, s69, v115, v132
	v_bfi_b32 v79, s69, v114, v131
	v_pk_add_f16 v7, v59, v7 op_sel_hi:[0,1]
	v_pk_mul_f16 v59, v83, s71 op_sel_hi:[0,1]
	v_mul_f16_e32 v116, 0x39e9, v87
	v_add_f16_e32 v133, v133, v134
	v_pk_mul_f16 v134, v87, s56 op_sel_hi:[0,1]
	v_pk_add_f16 v78, v78, v79
	v_pk_fma_f16 v59, v85, s79, v59 op_sel_hi:[0,1,1]
	v_pk_add_f16 v60, v60, v78
	v_bfi_b32 v78, s69, v117, v135
	v_bfi_b32 v79, s69, v116, v134
	v_pk_add_f16 v7, v7, v59
	v_pk_mul_f16 v59, v87, s72 op_sel_hi:[0,1]
	v_mul_f16_e32 v118, 0x3722, v91
	v_pk_mul_f16 v136, v91, s58 op_sel_hi:[0,1]
	v_pk_add_f16 v78, v78, v79
	v_pk_fma_f16 v59, v89, s80, v59 op_sel_hi:[0,1,1]
	v_pk_add_f16 v60, v60, v78
	v_bfi_b32 v78, s69, v119, v137
	v_bfi_b32 v79, s69, v118, v136
	v_pk_add_f16 v7, v7, v59
	v_pk_mul_f16 v59, v91, s73 op_sel_hi:[0,1]
	v_mul_f16_e32 v120, 0xbbdd, v95
	;; [unrolled: 9-line block ×5, first 2 shown]
	v_pk_mul_f16 v144, v107, s66 op_sel_hi:[0,1]
	v_pk_add_f16 v78, v78, v79
	v_pk_fma_f16 v59, v105, s84, v59 op_sel_hi:[0,1,1]
	v_pk_add_f16 v60, v60, v78
	v_bfi_b32 v78, s69, v127, v145
	v_bfi_b32 v79, s69, v126, v144
	v_pk_add_f16 v7, v7, v59
	v_pk_mul_f16 v59, v107, s77 op_sel_hi:[0,1]
	v_pk_add_f16 v78, v78, v79
	v_pk_fma_f16 v59, v109, s85, v59 op_sel_hi:[0,1,1]
	v_pk_add_f16 v80, v60, v78
	v_pk_add_f16 v81, v7, v59
	v_alignbit_b32 v79, v162, v6, 16
	v_pack_b32_f16 v78, v111, v6
	ds_write_b128 v2, v[78:81] offset:594
	ds_write_b16 v2, v133 offset:610
.LBB0_16:
	s_or_b64 exec, exec, s[4:5]
	v_add_f16_e32 v6, v1, v68
	v_add_f16_e32 v6, v6, v67
	;; [unrolled: 1-line block ×15, first 2 shown]
	v_sub_f16_e32 v38, v38, v58
	v_add_f16_e32 v6, v76, v6
	v_add_f16_e32 v7, v76, v68
	v_mul_f16_e32 v76, 0xb1e1, v38
	v_sub_f16_e32 v36, v36, v57
	v_mul_f16_e32 v59, 0xbbb2, v38
	v_fma_f16 v77, v7, s19, v76
	v_add_f16_e32 v67, v75, v67
	v_mul_f16_e32 v79, 0x35c8, v36
	v_sub_f16_e32 v33, v33, v56
	v_fma_f16 v60, v7, s12, v59
	v_add_f16_e32 v77, v77, v1
	v_mul_f16_e32 v75, 0x3836, v36
	v_fma_f16 v80, v67, s14, v79
	v_add_f16_e32 v66, v74, v66
	v_mul_f16_e32 v81, 0xb836, v33
	v_add_f16_e32 v60, v60, v1
	v_fma_f16 v78, v67, s13, v75
	v_add_f16_e32 v77, v77, v80
	v_mul_f16_e32 v74, 0x3964, v33
	v_fma_f16 v82, v66, s13, v81
	v_sub_f16_e32 v31, v31, v55
	v_add_f16_e32 v60, v60, v78
	v_fma_f16 v80, v66, s15, v74
	v_add_f16_e32 v77, v77, v82
	v_add_f16_e32 v65, v73, v65
	v_mul_f16_e32 v82, 0xbb29, v31
	v_add_f16_e32 v60, v60, v80
	v_fma_f16 v73, v65, s18, v82
	v_mul_f16_e32 v84, 0x3964, v31
	v_sub_f16_e32 v27, v27, v54
	v_add_f16_e32 v60, v60, v73
	v_fma_f16 v73, v65, s15, v84
	v_add_f16_e32 v64, v72, v64
	v_mul_f16_e32 v72, 0xb1e1, v27
	v_add_f16_e32 v73, v77, v73
	v_fma_f16 v77, v64, s19, v72
	v_mul_f16_e32 v86, 0xba62, v27
	v_sub_f16_e32 v18, v18, v53
	v_add_f16_e32 v60, v60, v77
	v_fma_f16 v77, v64, s11, v86
	;; [unrolled: 8-line block ×3, first 2 shown]
	v_add_f16_e32 v62, v70, v62
	v_mul_f16_e32 v70, 0xb5c8, v15
	v_add_f16_e32 v73, v73, v77
	v_fma_f16 v77, v62, s14, v70
	v_mul_f16_e32 v90, 0xbbb2, v15
	v_add_f16_e32 v60, v60, v77
	v_fma_f16 v77, v62, s12, v90
	v_sub_f16_e32 v44, v44, v51
	v_pk_mul_f16 v51, v38, s39 op_sel_hi:[0,1]
	v_add_f16_e32 v91, v73, v77
	v_add_f16_e32 v61, v69, v61
	v_fma_f16 v69, v7, s14, -v51
	v_pk_fma_f16 v51, v7, s37, v51 op_sel_hi:[0,1,1]
	v_pk_mul_f16 v73, v36, s41 op_sel_hi:[0,1]
	v_pk_add_f16 v51, v51, v1 op_sel_hi:[1,0]
	v_fma_f16 v77, v67, s15, -v73
	v_pk_fma_f16 v73, v67, s38, v73 op_sel_hi:[0,1,1]
	v_add_f16_e32 v69, v69, v1
	v_pk_add_f16 v51, v51, v73
	v_pk_mul_f16 v73, v33, s43 op_sel_hi:[0,1]
	v_add_f16_e32 v69, v69, v77
	v_fma_f16 v77, v66, s18, -v73
	v_pk_fma_f16 v73, v66, s40, v73 op_sel_hi:[0,1,1]
	v_pk_add_f16 v51, v51, v73
	v_pk_mul_f16 v73, v31, s45 op_sel_hi:[0,1]
	v_add_f16_e32 v69, v69, v77
	v_fma_f16 v77, v65, s10, -v73
	v_pk_fma_f16 v73, v65, s42, v73 op_sel_hi:[0,1,1]
	;; [unrolled: 5-line block ×5, first 2 shown]
	v_add_f16_e32 v69, v69, v77
	v_pk_add_f16 v51, v51, v73
	v_pk_mul_f16 v73, v61, s50 op_sel_hi:[0,1]
	v_pk_mul_f16 v77, v44, s53 op_sel_hi:[0,1]
	v_sub_f16_e32 v73, v73, v77
	v_add_f16_e32 v93, v69, v73
	v_pk_mul_f16 v69, v38, s55 op_sel_hi:[0,1]
	v_pk_fma_f16 v73, v7, s52, v69 op_sel_hi:[0,1,1]
	v_pk_mul_f16 v94, v36, s57 op_sel_hi:[0,1]
	v_pk_add_f16 v73, v73, v1 op_sel_hi:[1,0]
	v_pk_fma_f16 v95, v67, s54, v94 op_sel_hi:[0,1,1]
	v_pk_mul_f16 v96, v33, s59 op_sel_hi:[0,1]
	v_pk_add_f16 v73, v73, v95
	v_pk_fma_f16 v97, v66, s56, v96 op_sel_hi:[0,1,1]
	v_pk_mul_f16 v98, v31, s61 op_sel_hi:[0,1]
	v_pk_add_f16 v73, v73, v97
	;; [unrolled: 3-line block ×5, first 2 shown]
	v_pk_fma_f16 v105, v62, s64, v104 op_sel_hi:[0,1,1]
	s_mov_b32 s12, 0x39643b29
	v_pk_add_f16 v105, v73, v105
	v_pk_mul_f16 v73, v38, s12 op_sel_hi:[0,1]
	s_mov_b32 s13, 0x3bf73a62
	v_pk_fma_f16 v92, v61, s50, v77 op_sel_hi:[0,1,1]
	v_pk_fma_f16 v73, v7, s70, v73 op_sel_hi:[0,1,1]
	v_pk_mul_f16 v109, v36, s13 op_sel_hi:[0,1]
	v_mul_f16_e32 v58, 0xb461, v7
	v_pk_add_f16 v92, v51, v92
	v_pk_mul_f16 v51, v7, s52 op_sel_hi:[0,1]
	v_pk_add_f16 v73, v73, v1 op_sel_hi:[1,0]
	v_pk_fma_f16 v109, v67, s71, v109 op_sel_hi:[0,1,1]
	s_mov_b32 s14, 0x3a62b1e1
	v_mul_f16_e32 v57, 0xbacd, v67
	v_pk_mul_f16 v77, v67, s54 op_sel_hi:[0,1]
	v_pk_add_f16 v73, v73, v109
	v_pk_mul_f16 v109, v33, s14 op_sel_hi:[0,1]
	v_bfi_b32 v51, s69, v58, v51
	v_bfi_b32 v58, s69, v59, v69
	v_pk_fma_f16 v109, v66, s72, v109 op_sel_hi:[0,1,1]
	s_mov_b32 s15, 0x31e1bbb2
	v_pk_add_f16 v51, v51, v58 neg_lo:[0,1] neg_hi:[0,1]
	v_bfi_b32 v57, s69, v57, v77
	v_bfi_b32 v58, s69, v75, v94
	v_mul_f16_e32 v56, 0x39e9, v66
	v_pk_mul_f16 v95, v66, s56 op_sel_hi:[0,1]
	v_pk_add_f16 v73, v73, v109
	v_pk_mul_f16 v109, v31, s15 op_sel_hi:[0,1]
	v_pk_add_f16 v51, v51, v1 op_sel_hi:[1,0]
	v_pk_add_f16 v57, v57, v58 neg_lo:[0,1] neg_hi:[0,1]
	v_pk_fma_f16 v109, v65, s73, v109 op_sel_hi:[0,1,1]
	s_mov_b32 s18, 0xb836b964
	v_pk_add_f16 v51, v51, v57
	v_bfi_b32 v56, s69, v56, v95
	v_bfi_b32 v57, s69, v74, v96
	v_mul_f16_e32 v55, 0x3722, v65
	v_pk_mul_f16 v97, v65, s58 op_sel_hi:[0,1]
	v_pk_add_f16 v73, v73, v109
	v_pk_mul_f16 v109, v27, s18 op_sel_hi:[0,1]
	v_pk_add_f16 v56, v56, v57 neg_lo:[0,1] neg_hi:[0,1]
	v_pk_fma_f16 v109, v64, s74, v109 op_sel_hi:[0,1,1]
	s_mov_b32 s19, 0xbbb235c8
	v_pk_add_f16 v51, v51, v56
	v_bfi_b32 v55, s69, v55, v97
	v_bfi_b32 v56, s69, v82, v98
	v_mul_f16_e32 v54, 0xbbdd, v64
	v_pk_mul_f16 v99, v64, s60 op_sel_hi:[0,1]
	v_pk_add_f16 v73, v73, v109
	v_pk_mul_f16 v109, v18, s19 op_sel_hi:[0,1]
	;; [unrolled: 10-line block ×3, first 2 shown]
	v_pk_add_f16 v54, v54, v55 neg_lo:[0,1] neg_hi:[0,1]
	v_pk_fma_f16 v109, v62, s76, v109 op_sel_hi:[0,1,1]
	s_mov_b32 s38, 0xb5c83836
	v_pk_add_f16 v51, v51, v54
	v_bfi_b32 v53, s69, v53, v101
	v_bfi_b32 v54, s69, v71, v102
	v_mul_f16_e32 v52, 0x3b76, v62
	v_pk_mul_f16 v103, v62, s64 op_sel_hi:[0,1]
	v_pk_mul_f16 v107, v44, s68 op_sel_hi:[0,1]
	v_pk_add_f16 v73, v73, v109
	v_pk_mul_f16 v109, v44, s38 op_sel_hi:[0,1]
	v_pk_add_f16 v53, v53, v54 neg_lo:[0,1] neg_hi:[0,1]
	v_pk_fma_f16 v108, v61, s66, v107 op_sel_hi:[0,1,1]
	v_pk_fma_f16 v109, v61, s77, v109 op_sel_hi:[0,1,1]
	v_pk_add_f16 v51, v51, v53
	v_bfi_b32 v52, s69, v52, v103
	v_bfi_b32 v53, s69, v70, v104
	v_pk_mul_f16 v106, v61, s66 op_sel_hi:[0,1]
	v_pk_add_f16 v73, v73, v109
	v_pk_add_f16 v105, v105, v108
	v_mul_f16_e32 v108, 0xb8d2, v61
	v_mul_f16_e32 v109, 0xba62, v44
	v_pk_add_f16 v52, v52, v53 neg_lo:[0,1] neg_hi:[0,1]
	v_bfi_b32 v53, s69, v109, v107
	v_pk_add_f16 v51, v51, v52
	v_bfi_b32 v52, s69, v108, v106
	v_pk_add_f16 v52, v52, v53 neg_lo:[0,1] neg_hi:[0,1]
	v_pk_mul_f16 v38, v38, s23 op_sel_hi:[0,1]
	v_pk_add_f16 v72, v51, v52
	v_pk_mul_f16 v51, v7, s20 op_sel_hi:[0,1]
	v_sub_f16_e32 v52, v51, v38
	v_pk_mul_f16 v53, v67, s21 op_sel_hi:[0,1]
	v_pk_mul_f16 v36, v36, s25 op_sel_hi:[0,1]
	v_mul_f16_e32 v68, 0xbbdd, v7
	v_add_f16_e32 v52, v52, v1
	v_pk_fma_f16 v7, v7, s20, v38 op_sel_hi:[0,1,1]
	v_sub_f16_e32 v54, v53, v36
	v_pk_add_f16 v7, v7, v1 op_sel_hi:[1,0]
	v_add_f16_e32 v52, v52, v54
	v_pk_fma_f16 v54, v67, s21, v36 op_sel_hi:[0,1,1]
	v_pk_add_f16 v7, v7, v54
	v_pk_mul_f16 v54, v66, s22 op_sel_hi:[0,1]
	v_pk_mul_f16 v33, v33, s27 op_sel_hi:[0,1]
	v_sub_f16_e32 v55, v54, v33
	v_add_f16_e32 v52, v52, v55
	v_pk_fma_f16 v55, v66, s22, v33 op_sel_hi:[0,1,1]
	v_pk_add_f16 v7, v7, v55
	v_pk_mul_f16 v55, v65, s24 op_sel_hi:[0,1]
	v_pk_mul_f16 v31, v31, s29 op_sel_hi:[0,1]
	v_bfi_b32 v51, s69, v68, v51
	v_bfi_b32 v38, s69, v76, v38
	v_mul_f16_e32 v78, 0x3b76, v67
	v_sub_f16_e32 v56, v55, v31
	v_pk_add_f16 v38, v51, v38 neg_lo:[0,1] neg_hi:[0,1]
	v_add_f16_e32 v52, v52, v56
	v_pk_fma_f16 v56, v65, s24, v31 op_sel_hi:[0,1,1]
	v_pk_add_f16 v1, v38, v1 op_sel_hi:[1,0]
	v_bfi_b32 v38, s69, v78, v53
	v_bfi_b32 v36, s69, v79, v36
	v_mul_f16_e32 v80, 0xbacd, v66
	v_pk_add_f16 v7, v7, v56
	v_pk_mul_f16 v56, v64, s26 op_sel_hi:[0,1]
	v_pk_mul_f16 v27, v27, s31 op_sel_hi:[0,1]
	v_pk_add_f16 v36, v38, v36 neg_lo:[0,1] neg_hi:[0,1]
	v_sub_f16_e32 v57, v56, v27
	v_pk_add_f16 v1, v1, v36
	v_bfi_b32 v36, s69, v80, v54
	v_bfi_b32 v33, s69, v81, v33
	v_mul_f16_e32 v83, 0x39e9, v65
	v_add_f16_e32 v52, v52, v57
	v_pk_fma_f16 v57, v64, s26, v27 op_sel_hi:[0,1,1]
	v_pk_add_f16 v33, v36, v33 neg_lo:[0,1] neg_hi:[0,1]
	v_pk_add_f16 v7, v7, v57
	v_pk_mul_f16 v57, v63, s28 op_sel_hi:[0,1]
	v_pk_mul_f16 v18, v18, s33 op_sel_hi:[0,1]
	v_pk_add_f16 v1, v1, v33
	v_bfi_b32 v33, s69, v83, v55
	v_bfi_b32 v31, s69, v84, v31
	v_mul_f16_e32 v85, 0xb8d2, v64
	v_sub_f16_e32 v58, v57, v18
	v_pk_add_f16 v31, v33, v31 neg_lo:[0,1] neg_hi:[0,1]
	v_add_f16_e32 v52, v52, v58
	v_pk_fma_f16 v58, v63, s28, v18 op_sel_hi:[0,1,1]
	v_pk_add_f16 v1, v1, v31
	v_bfi_b32 v31, s69, v85, v56
	v_bfi_b32 v27, s69, v86, v27
	v_mul_f16_e32 v87, 0x3722, v63
	v_pk_add_f16 v7, v7, v58
	v_pk_mul_f16 v58, v62, s30 op_sel_hi:[0,1]
	v_pk_mul_f16 v15, v15, s35 op_sel_hi:[0,1]
	v_pk_add_f16 v27, v31, v27 neg_lo:[0,1] neg_hi:[0,1]
	v_fma_f16 v110, v61, s11, v109
	v_sub_f16_e32 v59, v58, v15
	v_pk_add_f16 v1, v1, v27
	v_bfi_b32 v27, s69, v87, v57
	v_bfi_b32 v18, s69, v88, v18
	v_mul_f16_e32 v89, 0xb461, v62
	v_add_f16_e32 v110, v60, v110
	v_add_f16_e32 v52, v52, v59
	v_pk_fma_f16 v59, v62, s30, v15 op_sel_hi:[0,1,1]
	v_pk_mul_f16 v60, v44, s36 op_sel_hi:[0,1]
	v_pk_add_f16 v18, v27, v18 neg_lo:[0,1] neg_hi:[0,1]
	v_pk_add_f16 v7, v7, v59
	v_pk_fma_f16 v62, v61, s34, v60 op_sel_hi:[0,1,1]
	v_pk_add_f16 v1, v1, v18
	v_bfi_b32 v18, s69, v89, v58
	v_bfi_b32 v15, s69, v90, v15
	v_pk_mul_f16 v59, v61, s34 op_sel_hi:[0,1]
	v_pk_add_f16 v77, v7, v62
	v_mul_f16_e32 v7, 0x2de8, v61
	v_mul_f16_e32 v44, 0x3bf7, v44
	v_pk_add_f16 v15, v18, v15 neg_lo:[0,1] neg_hi:[0,1]
	v_bfi_b32 v7, s69, v7, v59
	v_pk_add_f16 v1, v1, v15
	v_bfi_b32 v15, s69, v44, v60
	v_pk_add_f16 v7, v7, v15 neg_lo:[0,1] neg_hi:[0,1]
	v_sub_f16_e32 v63, v59, v60
	v_pk_add_f16 v7, v1, v7
	v_lshlrev_b32_e32 v0, 1, v0
	v_lshlrev_b32_e32 v1, 1, v14
	v_add_f16_e32 v70, v52, v63
	v_fma_f16 v52, v61, s10, v44
	v_add3_u32 v18, 0, v1, v0
	v_add_f16_e32 v82, v91, v52
	s_waitcnt lgkmcnt(0)
	; wave barrier
	s_waitcnt lgkmcnt(0)
	v_add3_u32 v15, 0, v0, v1
	ds_read_u16 v61, v18 offset:204
	ds_read_u16 v58, v18 offset:238
	ds_read_u16 v38, v15
	ds_read_u16 v36, v18 offset:34
	ds_read_u16 v33, v18 offset:68
	;; [unrolled: 1-line block ×22, first 2 shown]
	v_add_u32_e32 v27, 17, v14
	v_alignbit_b32 v76, v110, v105, 16
	v_alignbit_b32 v75, v105, v92, 16
	v_pack_b32_f16 v74, v6, v92
	v_alignbit_b32 v71, v70, v7, 16
	v_pack_b32_f16 v70, v82, v7
	s_waitcnt lgkmcnt(0)
	; wave barrier
	s_waitcnt lgkmcnt(0)
	ds_write_b128 v2, v[74:77]
	ds_write_b128 v2, v[70:73] offset:16
	ds_write_b16 v2, v93 offset:32
	s_and_saveexec_b64 s[4:5], s[0:1]
	s_cbranch_execz .LBB0_18
; %bb.17:
	v_add_f16_e32 v2, v3, v48
	v_add_f16_e32 v2, v2, v45
	;; [unrolled: 1-line block ×12, first 2 shown]
	v_sub_f16_e32 v7, v19, v47
	v_add_f16_e32 v2, v42, v2
	v_add_f16_e32 v6, v48, v50
	s_mov_b32 s0, 0xbbdd
	v_mul_f16_e32 v70, 0xb1e1, v7
	v_sub_f16_e32 v17, v17, v40
	v_add_f16_e32 v2, v46, v2
	s_mov_b32 s1, 0xb461
	v_mul_f16_e32 v47, 0xbbb2, v7
	v_fma_f16 v71, v6, s0, v70
	v_add_f16_e32 v45, v45, v49
	s_movk_i32 s11, 0x3b76
	v_mul_f16_e32 v73, 0x35c8, v17
	v_sub_f16_e32 v16, v16, v34
	v_add_f16_e32 v2, v49, v2
	v_fma_f16 v48, v6, s1, v47
	v_add_f16_e32 v71, v3, v71
	s_mov_b32 s10, 0xbacd
	v_mul_f16_e32 v49, 0x3836, v17
	v_fma_f16 v74, v45, s11, v73
	v_add_f16_e32 v43, v43, v46
	v_mul_f16_e32 v75, 0xb836, v16
	v_add_f16_e32 v48, v3, v48
	v_fma_f16 v72, v45, s10, v49
	v_add_f16_e32 v71, v71, v74
	s_movk_i32 s20, 0x39e9
	v_mul_f16_e32 v46, 0x3964, v16
	v_fma_f16 v76, v43, s10, v75
	v_sub_f16_e32 v29, v13, v29
	v_add_f16_e32 v48, v48, v72
	v_fma_f16 v74, v43, s20, v46
	v_add_f16_e32 v71, v71, v76
	v_add_f16_e32 v41, v41, v42
	s_movk_i32 s21, 0x3722
	v_mul_f16_e32 v76, 0xbb29, v29
	v_mul_f16_e32 v77, 0x3964, v29
	v_sub_f16_e32 v25, v12, v25
	v_add_f16_e32 v48, v48, v74
	v_fma_f16 v13, v41, s21, v76
	v_fma_f16 v78, v41, s20, v77
	v_add_f16_e32 v37, v37, v39
	v_mul_f16_e32 v39, 0xb1e1, v25
	s_mov_b32 s22, 0xb8d2
	v_mul_f16_e32 v79, 0xba62, v25
	v_sub_f16_e32 v11, v11, v23
	v_add_f16_e32 v13, v48, v13
	v_add_f16_e32 v71, v71, v78
	v_fma_f16 v78, v37, s0, v39
	v_fma_f16 v80, v37, s22, v79
	v_add_f16_e32 v32, v32, v35
	s_movk_i32 s0, 0x2de8
	v_mul_f16_e32 v35, 0x3bf7, v11
	v_mul_f16_e32 v81, 0x3b29, v11
	v_sub_f16_e32 v10, v10, v22
	v_add_f16_e32 v13, v13, v78
	v_add_f16_e32 v71, v71, v80
	v_fma_f16 v80, v32, s0, v35
	v_fma_f16 v82, v32, s21, v81
	v_add_f16_e32 v28, v28, v30
	v_mul_f16_e32 v30, 0xb5c8, v10
	v_add_f16_e32 v13, v13, v80
	v_add_f16_e32 v71, v71, v82
	v_fma_f16 v82, v28, s11, v30
	v_mul_f16_e32 v84, 0xbbb2, v10
	v_add_f16_e32 v82, v13, v82
	v_fma_f16 v13, v28, s1, v84
	s_mov_b32 s24, 0xb964b5c8
	v_add_f16_e32 v71, v71, v13
	s_mov_b32 s23, 0x39e93b76
	v_pk_mul_f16 v13, v7, s24 op_sel_hi:[0,1]
	v_sub_f16_e32 v20, v20, v21
	v_fma_f16 v21, v6, s11, -v13
	v_pk_fma_f16 v13, v6, s23, v13 op_sel_hi:[0,1,1]
	s_mov_b32 s23, 0xbbf7b964
	v_add_f16_e32 v24, v24, v26
	s_mov_b32 s11, 0x2de839e9
	v_pk_mul_f16 v26, v17, s23 op_sel_hi:[0,1]
	v_pk_add_f16 v13, v3, v13 op_sel_hi:[0,1]
	v_fma_f16 v85, v45, s20, -v26
	v_pk_fma_f16 v26, v45, s11, v26 op_sel_hi:[0,1,1]
	s_mov_b32 s20, 0xba62bb29
	v_add_f16_e32 v21, v3, v21
	v_pk_add_f16 v13, v13, v26
	s_mov_b32 s11, 0xb8d23722
	v_pk_mul_f16 v26, v16, s20 op_sel_hi:[0,1]
	v_add_f16_e32 v21, v21, v85
	v_fma_f16 v85, v43, s21, -v26
	v_pk_fma_f16 v26, v43, s11, v26 op_sel_hi:[0,1,1]
	s_mov_b32 s20, 0xb1e1bbf7
	v_pk_add_f16 v13, v13, v26
	s_mov_b32 s11, 0xbbdd2de8
	v_pk_mul_f16 v26, v29, s20 op_sel_hi:[0,1]
	v_add_f16_e32 v21, v21, v85
	v_fma_f16 v85, v41, s0, -v26
	v_pk_fma_f16 v26, v41, s11, v26 op_sel_hi:[0,1,1]
	s_mov_b32 s20, 0x3836bbb2
	v_pk_add_f16 v13, v13, v26
	s_mov_b32 s11, 0xbacdb461
	v_pk_mul_f16 v26, v25, s20 op_sel_hi:[0,1]
	v_add_f16_e32 v21, v21, v85
	v_fma_f16 v85, v37, s1, -v26
	v_pk_fma_f16 v26, v37, s11, v26 op_sel_hi:[0,1,1]
	s_mov_b32 s11, 0x3bb2ba62
	v_pk_add_f16 v13, v13, v26
	s_mov_b32 s1, 0xb461b8d2
	v_pk_mul_f16 v26, v11, s11 op_sel_hi:[0,1]
	v_add_f16_e32 v21, v21, v85
	v_fma_f16 v85, v32, s22, -v26
	v_pk_fma_f16 v26, v32, s1, v26 op_sel_hi:[0,1,1]
	s_mov_b32 s11, 0x3b29b836
	v_pk_add_f16 v13, v13, v26
	v_pk_mul_f16 v26, v10, s11 op_sel_hi:[0,1]
	v_add_f16_e32 v21, v21, v85
	s_mov_b32 s1, 0x3722bacd
	v_fma_f16 v85, v28, s10, -v26
	s_mov_b32 s10, 0x35c8b1e1
	v_add_f16_e32 v21, v21, v85
	v_pk_fma_f16 v26, v28, s1, v26 op_sel_hi:[0,1,1]
	s_mov_b32 s1, 0x3b76bbdd
	v_pk_mul_f16 v85, v20, s10 op_sel_hi:[0,1]
	v_pk_add_f16 v13, v13, v26
	v_pk_mul_f16 v26, v24, s1 op_sel_hi:[0,1]
	v_pk_fma_f16 v86, v24, s1, v85 op_sel_hi:[0,1,1]
	s_mov_b32 s10, 0xbbf7bb29
	v_sub_f16_e32 v26, v26, v85
	v_pk_add_f16 v85, v13, v86
	s_mov_b32 s1, 0x2de83722
	v_pk_mul_f16 v86, v7, s10 op_sel_hi:[0,1]
	s_mov_b32 s10, 0xb1e1ba62
	v_add_f16_e32 v26, v21, v26
	v_pk_mul_f16 v21, v6, s1 op_sel_hi:[0,1]
	v_pk_fma_f16 v13, v6, s1, v86 op_sel_hi:[0,1,1]
	s_mov_b32 s1, 0xbbddb8d2
	v_pk_mul_f16 v88, v17, s10 op_sel_hi:[0,1]
	s_mov_b32 s10, 0x3bb231e1
	v_pk_add_f16 v13, v3, v13 op_sel_hi:[0,1]
	v_pk_mul_f16 v87, v45, s1 op_sel_hi:[0,1]
	v_pk_fma_f16 v89, v45, s1, v88 op_sel_hi:[0,1,1]
	s_mov_b32 s1, 0xb461bbdd
	v_pk_mul_f16 v90, v16, s10 op_sel_hi:[0,1]
	s_mov_b32 s10, 0x35c83bb2
	v_pk_add_f16 v13, v13, v89
	v_pk_mul_f16 v89, v43, s1 op_sel_hi:[0,1]
	v_pk_fma_f16 v91, v43, s1, v90 op_sel_hi:[0,1,1]
	s_mov_b32 s1, 0x3b76b461
	v_pk_mul_f16 v92, v29, s10 op_sel_hi:[0,1]
	s_mov_b32 s10, 0xbb293964
	v_pk_add_f16 v13, v13, v91
	;; [unrolled: 6-line block ×5, first 2 shown]
	v_pk_mul_f16 v97, v28, s1 op_sel_hi:[0,1]
	v_pk_fma_f16 v99, v28, s1, v98 op_sel_hi:[0,1,1]
	s_mov_b32 s1, 0x39e9bacd
	v_pk_mul_f16 v101, v20, s10 op_sel_hi:[0,1]
	v_pk_add_f16 v99, v13, v99
	v_pk_mul_f16 v100, v24, s1 op_sel_hi:[0,1]
	v_pk_fma_f16 v102, v24, s1, v101 op_sel_hi:[0,1,1]
	s_mov_b32 s1, 0x39e93722
	v_pk_mul_f16 v13, v7, s12 op_sel_hi:[0,1]
	v_pk_fma_f16 v13, v6, s1, v13 op_sel_hi:[0,1,1]
	s_mov_b32 s1, 0x2de8b8d2
	v_pk_mul_f16 v103, v17, s13 op_sel_hi:[0,1]
	v_pk_add_f16 v13, v3, v13 op_sel_hi:[0,1]
	v_pk_fma_f16 v103, v45, s1, v103 op_sel_hi:[0,1,1]
	v_pk_add_f16 v13, v13, v103
	s_mov_b32 s1, 0xb8d2bbdd
	v_pk_mul_f16 v103, v16, s14 op_sel_hi:[0,1]
	v_pk_fma_f16 v103, v43, s1, v103 op_sel_hi:[0,1,1]
	v_pk_add_f16 v13, v13, v103
	s_mov_b32 s1, 0xbbddb461
	v_pk_mul_f16 v103, v29, s15 op_sel_hi:[0,1]
	;; [unrolled: 4-line block ×6, first 2 shown]
	v_mul_f16_e32 v19, 0xb461, v6
	v_pk_fma_f16 v103, v24, s1, v103 op_sel_hi:[0,1,1]
	s_mov_b32 s1, 0xffff
	v_mul_f16_e32 v40, 0xbacd, v45
	v_bfi_b32 v19, s1, v19, v21
	v_bfi_b32 v21, s1, v47, v86
	v_pk_add_f16 v19, v19, v21 neg_lo:[0,1] neg_hi:[0,1]
	v_bfi_b32 v21, s1, v40, v87
	v_bfi_b32 v40, s1, v49, v88
	v_mul_f16_e32 v34, 0x39e9, v43
	v_pk_add_f16 v19, v3, v19 op_sel_hi:[0,1]
	v_pk_add_f16 v21, v21, v40 neg_lo:[0,1] neg_hi:[0,1]
	v_mul_f16_e32 v42, 0x3722, v41
	v_pk_add_f16 v19, v19, v21
	v_bfi_b32 v21, s1, v34, v89
	v_bfi_b32 v34, s1, v46, v90
	v_pk_add_f16 v21, v21, v34 neg_lo:[0,1] neg_hi:[0,1]
	v_bfi_b32 v34, s1, v76, v92
	v_pk_add_f16 v19, v19, v21
	v_bfi_b32 v21, s1, v42, v91
	v_mul_f16_e32 v12, 0xbbdd, v37
	v_pk_add_f16 v21, v21, v34 neg_lo:[0,1] neg_hi:[0,1]
	v_bfi_b32 v12, s1, v12, v93
	v_pk_add_f16 v19, v19, v21
	v_bfi_b32 v21, s1, v39, v94
	v_mul_f16_e32 v23, 0x2de8, v32
	;; [unrolled: 5-line block ×3, first 2 shown]
	v_pk_add_f16 v19, v19, v21 neg_lo:[0,1] neg_hi:[0,1]
	v_bfi_b32 v21, s1, v30, v98
	v_pk_add_f16 v12, v12, v19
	v_bfi_b32 v19, s1, v22, v97
	v_pk_add_f16 v13, v13, v103
	v_pk_add_f16 v99, v99, v102
	v_mul_f16_e32 v102, 0xb8d2, v24
	v_mul_f16_e32 v103, 0xba62, v20
	v_pk_add_f16 v19, v19, v21 neg_lo:[0,1] neg_hi:[0,1]
	v_bfi_b32 v21, s1, v103, v101
	v_pk_add_f16 v12, v12, v19
	v_bfi_b32 v19, s1, v102, v100
	s_mov_b32 s11, 0xb836ba62
	v_pk_add_f16 v19, v19, v21 neg_lo:[0,1] neg_hi:[0,1]
	s_mov_b32 s10, 0xbacdb8d2
	v_pk_mul_f16 v7, v7, s11 op_sel_hi:[0,1]
	v_add_f16_e32 v2, v50, v2
	v_mul_f16_e32 v50, 0xbbdd, v6
	v_pk_add_f16 v12, v12, v19
	v_pk_mul_f16 v19, v6, s10 op_sel_hi:[0,1]
	v_pk_fma_f16 v6, v6, s10, v7 op_sel_hi:[0,1,1]
	s_mov_b32 s10, 0x3722b461
	s_mov_b32 s11, 0x3b293bb2
	v_sub_f16_e32 v21, v19, v7
	v_pk_mul_f16 v22, v45, s10 op_sel_hi:[0,1]
	v_pk_mul_f16 v17, v17, s11 op_sel_hi:[0,1]
	v_add_f16_e32 v21, v3, v21
	v_sub_f16_e32 v23, v22, v17
	v_add_f16_e32 v21, v21, v23
	v_pk_fma_f16 v23, v45, s10, v17 op_sel_hi:[0,1,1]
	s_mov_b32 s10, 0x2de83b76
	s_mov_b32 s11, 0xbbf7b5c8
	v_pk_add_f16 v6, v3, v6 op_sel_hi:[0,1]
	v_pk_mul_f16 v30, v43, s10 op_sel_hi:[0,1]
	v_pk_mul_f16 v16, v16, s11 op_sel_hi:[0,1]
	v_pk_add_f16 v6, v6, v23
	v_sub_f16_e32 v23, v30, v16
	v_add_f16_e32 v21, v21, v23
	v_pk_fma_f16 v23, v43, s10, v16 op_sel_hi:[0,1,1]
	s_mov_b32 s10, 0xb8d2bacd
	s_mov_b32 s11, 0x3a62b836
	v_pk_mul_f16 v34, v41, s10 op_sel_hi:[0,1]
	v_pk_mul_f16 v29, v29, s11 op_sel_hi:[0,1]
	v_bfi_b32 v19, s1, v50, v19
	v_bfi_b32 v7, s1, v70, v7
	v_mul_f16_e32 v72, 0x3b76, v45
	v_pk_add_f16 v6, v6, v23
	v_sub_f16_e32 v23, v34, v29
	v_pk_add_f16 v7, v19, v7 neg_lo:[0,1] neg_hi:[0,1]
	v_add_f16_e32 v21, v21, v23
	v_pk_fma_f16 v23, v41, s10, v29 op_sel_hi:[0,1,1]
	s_mov_b32 s10, 0x3b762de8
	s_mov_b32 s11, 0xb5c83bf7
	v_pk_add_f16 v3, v3, v7 op_sel_hi:[0,1]
	v_bfi_b32 v7, s1, v72, v22
	v_bfi_b32 v17, s1, v73, v17
	v_mul_f16_e32 v74, 0xbacd, v43
	v_pk_mul_f16 v35, v37, s10 op_sel_hi:[0,1]
	v_pk_mul_f16 v25, v25, s11 op_sel_hi:[0,1]
	v_pk_add_f16 v7, v7, v17 neg_lo:[0,1] neg_hi:[0,1]
	v_pk_add_f16 v6, v6, v23
	v_sub_f16_e32 v23, v35, v25
	v_pk_add_f16 v3, v3, v7
	v_bfi_b32 v7, s1, v74, v30
	v_bfi_b32 v16, s1, v75, v16
	v_mul_f16_e32 v48, 0x39e9, v41
	v_add_f16_e32 v21, v21, v23
	v_pk_fma_f16 v23, v37, s10, v25 op_sel_hi:[0,1,1]
	s_mov_b32 s10, 0xbbdd39e9
	s_mov_b32 s11, 0xb1e1b964
	v_pk_add_f16 v7, v7, v16 neg_lo:[0,1] neg_hi:[0,1]
	v_mul_f16_e32 v78, 0xb8d2, v37
	v_pk_mul_f16 v37, v32, s10 op_sel_hi:[0,1]
	v_pk_mul_f16 v11, v11, s11 op_sel_hi:[0,1]
	v_pk_add_f16 v3, v3, v7
	v_bfi_b32 v7, s1, v48, v34
	v_bfi_b32 v16, s1, v77, v29
	v_pk_add_f16 v6, v6, v23
	v_sub_f16_e32 v23, v37, v11
	v_pk_add_f16 v7, v7, v16 neg_lo:[0,1] neg_hi:[0,1]
	v_add_f16_e32 v21, v21, v23
	v_pk_fma_f16 v23, v32, s10, v11 op_sel_hi:[0,1,1]
	s_mov_b32 s10, 0x39e9bbdd
	s_mov_b32 s11, 0x3964b1e1
	v_pk_add_f16 v3, v3, v7
	v_bfi_b32 v7, s1, v78, v35
	v_bfi_b32 v16, s1, v79, v25
	v_mul_f16_e32 v80, 0x3722, v32
	v_pk_mul_f16 v32, v28, s10 op_sel_hi:[0,1]
	v_pk_mul_f16 v10, v10, s11 op_sel_hi:[0,1]
	v_pk_add_f16 v7, v7, v16 neg_lo:[0,1] neg_hi:[0,1]
	v_pk_add_f16 v6, v6, v23
	v_sub_f16_e32 v23, v32, v10
	s_mov_b32 s11, 0xbbb23b29
	v_pk_add_f16 v3, v3, v7
	v_bfi_b32 v7, s1, v80, v37
	v_bfi_b32 v11, s1, v81, v11
	v_mul_f16_e32 v83, 0xb461, v28
	v_add_f16_e32 v21, v21, v23
	v_pk_fma_f16 v23, v28, s10, v10 op_sel_hi:[0,1,1]
	s_mov_b32 s10, 0xb4613722
	v_pk_mul_f16 v39, v20, s11 op_sel_hi:[0,1]
	v_pk_add_f16 v7, v7, v11 neg_lo:[0,1] neg_hi:[0,1]
	v_pk_add_f16 v6, v6, v23
	v_pk_fma_f16 v23, v24, s10, v39 op_sel_hi:[0,1,1]
	v_pk_add_f16 v3, v3, v7
	v_bfi_b32 v7, s1, v83, v32
	v_bfi_b32 v10, s1, v84, v10
	v_pk_mul_f16 v28, v24, s10 op_sel_hi:[0,1]
	v_pk_add_f16 v23, v6, v23
	v_mul_f16_e32 v6, 0x2de8, v24
	v_mul_f16_e32 v20, 0x3bf7, v20
	v_pk_add_f16 v7, v7, v10 neg_lo:[0,1] neg_hi:[0,1]
	v_sub_f16_e32 v40, v28, v39
	v_pk_add_f16 v3, v3, v7
	v_bfi_b32 v6, s1, v6, v28
	v_bfi_b32 v7, s1, v20, v39
	v_fma_f16 v104, v24, s22, v103
	v_add_f16_e32 v40, v21, v40
	v_fma_f16 v21, v24, s0, v20
	v_pk_add_f16 v6, v6, v7 neg_lo:[0,1] neg_hi:[0,1]
	v_add_f16_e32 v82, v82, v104
	v_add_f16_e32 v24, v71, v21
	v_pk_add_f16 v3, v3, v6
	v_mul_u32_u24_e32 v6, 34, v27
	v_add3_u32 v6, 0, v6, v0
	v_alignbit_b32 v22, v82, v99, 16
	v_alignbit_b32 v21, v99, v85, 16
	v_pack_b32_f16 v20, v2, v85
	v_alignbit_b32 v11, v40, v3, 16
	v_pack_b32_f16 v10, v24, v3
	ds_write_b128 v6, v[20:23]
	ds_write_b128 v6, v[10:13] offset:16
	ds_write_b16 v6, v26 offset:32
.LBB0_18:
	s_or_b64 exec, exec, s[4:5]
	v_add_u32_e32 v16, 34, v14
	s_movk_i32 s0, 0xf1
	v_mul_lo_u16_sdwa v2, v16, s0 dst_sel:DWORD dst_unused:UNUSED_PAD src0_sel:BYTE_0 src1_sel:DWORD
	v_lshrrev_b16_e32 v2, 12, v2
	v_lshlrev_b32_e32 v10, 2, v14
	v_mov_b32_e32 v11, 0
	v_mul_lo_u16_e32 v2, 17, v2
	v_lshl_add_u64 v[6:7], v[10:11], 2, s[8:9]
	v_mov_b32_e32 v3, 4
	v_sub_u16_e32 v10, v16, v2
	s_waitcnt lgkmcnt(0)
	; wave barrier
	s_waitcnt lgkmcnt(0)
	global_load_dwordx4 v[20:23], v[6:7], off
	v_lshlrev_b32_sdwa v2, v3, v10 dst_sel:DWORD dst_unused:UNUSED_PAD src0_sel:DWORD src1_sel:BYTE_0
	v_add_u32_e32 v17, 51, v14
	global_load_dwordx4 v[40:43], v2, s[8:9]
	v_mul_lo_u16_sdwa v12, v17, s0 dst_sel:DWORD dst_unused:UNUSED_PAD src0_sel:BYTE_0 src1_sel:DWORD
	v_lshrrev_b16_e32 v12, 12, v12
	v_mul_lo_u16_e32 v12, 17, v12
	v_sub_u16_e32 v12, v17, v12
	v_lshlrev_b32_sdwa v13, v3, v12 dst_sel:DWORD dst_unused:UNUSED_PAD src0_sel:DWORD src1_sel:BYTE_0
	global_load_dwordx4 v[46:49], v13, s[8:9]
	v_add_u32_e32 v2, 0x44, v14
	v_mul_lo_u16_sdwa v35, v2, s0 dst_sel:DWORD dst_unused:UNUSED_PAD src0_sel:BYTE_0 src1_sel:DWORD
	v_lshrrev_b16_e32 v35, 12, v35
	v_mul_lo_u16_e32 v35, 17, v35
	v_sub_u16_e32 v35, v2, v35
	v_lshlrev_b32_sdwa v3, v3, v35 dst_sel:DWORD dst_unused:UNUSED_PAD src0_sel:DWORD src1_sel:BYTE_0
	ds_read_u16 v13, v18 offset:204
	ds_read_u16 v19, v18 offset:238
	ds_read_u16 v24, v15
	ds_read_u16 v25, v18 offset:34
	ds_read_u16 v26, v18 offset:68
	;; [unrolled: 1-line block ×7, first 2 shown]
	global_load_dwordx4 v[70:73], v3, s[8:9]
	ds_read_u16 v3, v18 offset:544
	ds_read_u16 v37, v18 offset:578
	;; [unrolled: 1-line block ×15, first 2 shown]
	s_movk_i32 s0, 0x3b9c
	s_mov_b32 s5, 0xbb9c
	s_movk_i32 s1, 0x38b4
	s_mov_b32 s10, 0xb8b4
	s_movk_i32 s4, 0x34f2
	s_waitcnt lgkmcnt(0)
	; wave barrier
	s_waitcnt vmcnt(3) lgkmcnt(0)
	v_mul_f16_sdwa v84, v75, v20 dst_sel:DWORD dst_unused:UNUSED_PAD src0_sel:DWORD src1_sel:WORD_1
	v_mul_f16_sdwa v85, v67, v20 dst_sel:DWORD dst_unused:UNUSED_PAD src0_sel:DWORD src1_sel:WORD_1
	;; [unrolled: 1-line block ×16, first 2 shown]
	v_fma_f16 v67, v67, v20, -v84
	v_fma_f16 v75, v75, v20, v85
	v_fma_f16 v69, v69, v21, -v86
	v_fma_f16 v79, v79, v21, v87
	;; [unrolled: 2-line block ×8, first 2 shown]
	s_waitcnt vmcnt(2)
	v_mul_f16_sdwa v45, v19, v40 dst_sel:DWORD dst_unused:UNUSED_PAD src0_sel:DWORD src1_sel:WORD_1
	v_fma_f16 v45, v58, v40, -v45
	v_mul_f16_sdwa v58, v58, v40 dst_sel:DWORD dst_unused:UNUSED_PAD src0_sel:DWORD src1_sel:WORD_1
	v_fma_f16 v19, v19, v40, v58
	v_mul_f16_sdwa v40, v32, v41 dst_sel:DWORD dst_unused:UNUSED_PAD src0_sel:DWORD src1_sel:WORD_1
	v_mul_f16_sdwa v58, v62, v41 dst_sel:DWORD dst_unused:UNUSED_PAD src0_sel:DWORD src1_sel:WORD_1
	v_fma_f16 v40, v62, v41, -v40
	v_fma_f16 v32, v32, v41, v58
	v_mul_f16_sdwa v41, v37, v42 dst_sel:DWORD dst_unused:UNUSED_PAD src0_sel:DWORD src1_sel:WORD_1
	v_mul_f16_sdwa v58, v60, v42 dst_sel:DWORD dst_unused:UNUSED_PAD src0_sel:DWORD src1_sel:WORD_1
	v_fma_f16 v41, v60, v42, -v41
	;; [unrolled: 4-line block ×3, first 2 shown]
	v_fma_f16 v43, v50, v43, v58
	s_waitcnt vmcnt(1)
	v_mul_f16_sdwa v50, v29, v46 dst_sel:DWORD dst_unused:UNUSED_PAD src0_sel:DWORD src1_sel:WORD_1
	v_fma_f16 v50, v56, v46, -v50
	v_mul_f16_sdwa v56, v56, v46 dst_sel:DWORD dst_unused:UNUSED_PAD src0_sel:DWORD src1_sel:WORD_1
	v_fma_f16 v29, v29, v46, v56
	v_mul_f16_sdwa v46, v34, v47 dst_sel:DWORD dst_unused:UNUSED_PAD src0_sel:DWORD src1_sel:WORD_1
	v_fma_f16 v46, v55, v47, -v46
	v_mul_f16_sdwa v55, v55, v47 dst_sel:DWORD dst_unused:UNUSED_PAD src0_sel:DWORD src1_sel:WORD_1
	v_add_f16_e32 v59, v69, v66
	v_fma_f16 v34, v34, v47, v55
	v_mul_f16_sdwa v47, v39, v48 dst_sel:DWORD dst_unused:UNUSED_PAD src0_sel:DWORD src1_sel:WORD_1
	v_fma_f16 v59, v59, -0.5, v38
	v_sub_f16_e32 v60, v75, v81
	v_fma_f16 v47, v54, v48, -v47
	v_mul_f16_sdwa v54, v54, v48 dst_sel:DWORD dst_unused:UNUSED_PAD src0_sel:DWORD src1_sel:WORD_1
	v_fma_f16 v62, v60, s0, v59
	v_sub_f16_e32 v63, v79, v77
	v_sub_f16_e32 v64, v67, v69
	;; [unrolled: 1-line block ×3, first 2 shown]
	v_fma_f16 v59, v60, s5, v59
	v_fma_f16 v39, v39, v48, v54
	v_mul_f16_sdwa v48, v74, v49 dst_sel:DWORD dst_unused:UNUSED_PAD src0_sel:DWORD src1_sel:WORD_1
	v_fma_f16 v62, v63, s1, v62
	v_add_f16_e32 v64, v64, v65
	v_fma_f16 v59, v63, s10, v59
	v_fma_f16 v48, v53, v49, -v48
	v_mul_f16_sdwa v53, v53, v49 dst_sel:DWORD dst_unused:UNUSED_PAD src0_sel:DWORD src1_sel:WORD_1
	v_fma_f16 v62, v64, s4, v62
	v_fma_f16 v59, v64, s4, v59
	v_add_f16_e32 v64, v67, v68
	v_fma_f16 v49, v74, v49, v53
	s_waitcnt vmcnt(0)
	v_mul_f16_sdwa v53, v80, v70 dst_sel:DWORD dst_unused:UNUSED_PAD src0_sel:DWORD src1_sel:WORD_1
	v_mul_f16_sdwa v54, v57, v70 dst_sel:DWORD dst_unused:UNUSED_PAD src0_sel:DWORD src1_sel:WORD_1
	v_add_f16_e32 v58, v38, v67
	v_fma_f16 v38, v64, -0.5, v38
	v_fma_f16 v53, v57, v70, -v53
	v_fma_f16 v54, v80, v70, v54
	v_fma_f16 v64, v63, s5, v38
	v_sub_f16_e32 v65, v69, v67
	v_sub_f16_e32 v70, v66, v68
	v_fma_f16 v38, v63, s0, v38
	v_add_f16_e32 v58, v58, v69
	v_fma_f16 v64, v60, s1, v64
	v_add_f16_e32 v65, v65, v70
	;; [unrolled: 2-line block ×3, first 2 shown]
	v_add_f16_e32 v58, v58, v66
	v_fma_f16 v64, v65, s4, v64
	v_fma_f16 v38, v65, s4, v38
	v_fma_f16 v63, v63, -0.5, v24
	v_sub_f16_e32 v65, v67, v68
	v_add_f16_e32 v58, v58, v68
	v_fma_f16 v67, v65, s5, v63
	v_sub_f16_e32 v66, v69, v66
	v_sub_f16_e32 v68, v75, v79
	;; [unrolled: 1-line block ×3, first 2 shown]
	v_fma_f16 v63, v65, s0, v63
	v_fma_f16 v67, v66, s10, v67
	v_add_f16_e32 v68, v68, v69
	v_fma_f16 v63, v66, s1, v63
	v_fma_f16 v67, v68, s4, v67
	;; [unrolled: 1-line block ×3, first 2 shown]
	v_add_f16_e32 v68, v75, v81
	v_add_f16_e32 v60, v24, v75
	v_fma_f16 v24, v68, -0.5, v24
	v_fma_f16 v68, v66, s0, v24
	v_sub_f16_e32 v69, v79, v75
	v_sub_f16_e32 v70, v77, v81
	v_fma_f16 v24, v66, s5, v24
	v_mul_f16_sdwa v55, v78, v71 dst_sel:DWORD dst_unused:UNUSED_PAD src0_sel:DWORD src1_sel:WORD_1
	v_mul_f16_sdwa v56, v82, v72 dst_sel:DWORD dst_unused:UNUSED_PAD src0_sel:DWORD src1_sel:WORD_1
	;; [unrolled: 1-line block ×3, first 2 shown]
	v_fma_f16 v68, v65, s10, v68
	v_add_f16_e32 v69, v69, v70
	v_fma_f16 v24, v65, s1, v24
	v_add_f16_e32 v66, v20, v30
	v_fma_f16 v55, v51, v71, -v55
	v_mul_f16_sdwa v51, v51, v71 dst_sel:DWORD dst_unused:UNUSED_PAD src0_sel:DWORD src1_sel:WORD_1
	v_fma_f16 v56, v52, v72, -v56
	v_mul_f16_sdwa v52, v52, v72 dst_sel:DWORD dst_unused:UNUSED_PAD src0_sel:DWORD src1_sel:WORD_1
	v_fma_f16 v57, v44, v73, -v57
	v_mul_f16_sdwa v44, v44, v73 dst_sel:DWORD dst_unused:UNUSED_PAD src0_sel:DWORD src1_sel:WORD_1
	v_fma_f16 v68, v69, s4, v68
	v_fma_f16 v65, v69, s4, v24
	v_fma_f16 v66, v66, -0.5, v36
	v_sub_f16_e32 v69, v13, v23
	v_fma_f16 v51, v78, v71, v51
	v_fma_f16 v52, v82, v72, v52
	v_fma_f16 v44, v83, v73, v44
	v_fma_f16 v70, v69, s0, v66
	v_sub_f16_e32 v71, v21, v3
	v_sub_f16_e32 v72, v61, v20
	;; [unrolled: 1-line block ×3, first 2 shown]
	v_fma_f16 v66, v69, s5, v66
	v_fma_f16 v70, v71, s1, v70
	v_add_f16_e32 v72, v72, v73
	v_fma_f16 v66, v71, s10, v66
	v_add_f16_e32 v24, v36, v61
	v_fma_f16 v70, v72, s4, v70
	v_fma_f16 v66, v72, s4, v66
	v_add_f16_e32 v72, v61, v22
	v_add_f16_e32 v24, v24, v20
	v_fma_f16 v36, v72, -0.5, v36
	v_add_f16_e32 v24, v24, v30
	v_fma_f16 v72, v71, s5, v36
	v_fma_f16 v36, v71, s0, v36
	v_add_f16_e32 v71, v21, v3
	v_add_f16_e32 v24, v24, v22
	v_sub_f16_e32 v73, v20, v61
	v_sub_f16_e32 v74, v30, v22
	v_fma_f16 v71, v71, -0.5, v25
	v_sub_f16_e32 v22, v61, v22
	v_fma_f16 v72, v69, s1, v72
	v_add_f16_e32 v73, v73, v74
	v_fma_f16 v36, v69, s10, v36
	v_fma_f16 v61, v22, s5, v71
	v_sub_f16_e32 v20, v20, v30
	v_fma_f16 v72, v73, s4, v72
	v_fma_f16 v36, v73, s4, v36
	;; [unrolled: 1-line block ×3, first 2 shown]
	v_sub_f16_e32 v61, v13, v21
	v_sub_f16_e32 v73, v23, v3
	v_add_f16_e32 v61, v61, v73
	v_fma_f16 v73, v61, s4, v30
	v_fma_f16 v30, v22, s0, v71
	;; [unrolled: 1-line block ×3, first 2 shown]
	v_add_f16_e32 v69, v25, v13
	v_fma_f16 v61, v61, s4, v30
	v_add_f16_e32 v30, v13, v23
	v_add_f16_e32 v69, v69, v21
	v_fma_f16 v25, v30, -0.5, v25
	v_add_f16_e32 v69, v69, v3
	v_fma_f16 v30, v20, s0, v25
	v_sub_f16_e32 v13, v21, v13
	v_sub_f16_e32 v3, v3, v23
	v_fma_f16 v20, v20, s5, v25
	v_add_f16_e32 v21, v40, v41
	v_fma_f16 v30, v22, s10, v30
	v_add_f16_e32 v3, v13, v3
	v_fma_f16 v20, v22, s1, v20
	v_fma_f16 v21, v21, -0.5, v33
	v_sub_f16_e32 v22, v19, v43
	v_add_f16_e32 v69, v69, v23
	v_fma_f16 v13, v3, s4, v30
	v_fma_f16 v23, v22, s0, v21
	v_sub_f16_e32 v25, v32, v37
	v_sub_f16_e32 v30, v45, v40
	;; [unrolled: 1-line block ×3, first 2 shown]
	v_fma_f16 v21, v22, s5, v21
	v_fma_f16 v23, v25, s1, v23
	v_add_f16_e32 v30, v30, v71
	v_fma_f16 v21, v25, s10, v21
	v_fma_f16 v23, v30, s4, v23
	;; [unrolled: 1-line block ×3, first 2 shown]
	v_add_f16_e32 v30, v45, v42
	v_fma_f16 v30, v30, -0.5, v33
	v_fma_f16 v3, v3, s4, v20
	v_add_f16_e32 v20, v33, v45
	v_fma_f16 v33, v25, s5, v30
	v_fma_f16 v25, v25, s0, v30
	;; [unrolled: 1-line block ×4, first 2 shown]
	v_add_f16_e32 v25, v26, v19
	v_sub_f16_e32 v71, v40, v45
	v_sub_f16_e32 v74, v41, v42
	v_add_f16_e32 v25, v25, v32
	v_add_f16_e32 v71, v71, v74
	;; [unrolled: 1-line block ×4, first 2 shown]
	v_fma_f16 v33, v71, s4, v33
	v_fma_f16 v22, v71, s4, v22
	v_add_f16_e32 v71, v25, v43
	v_add_f16_e32 v25, v32, v37
	;; [unrolled: 1-line block ×3, first 2 shown]
	v_fma_f16 v25, v25, -0.5, v26
	v_sub_f16_e32 v30, v45, v42
	v_add_f16_e32 v20, v20, v42
	v_fma_f16 v42, v30, s5, v25
	v_sub_f16_e32 v40, v40, v41
	v_fma_f16 v41, v40, s10, v42
	v_sub_f16_e32 v42, v19, v32
	v_sub_f16_e32 v45, v43, v37
	v_fma_f16 v25, v30, s0, v25
	v_add_f16_e32 v42, v42, v45
	v_fma_f16 v25, v40, s1, v25
	v_fma_f16 v74, v42, s4, v25
	v_add_f16_e32 v25, v19, v43
	v_fma_f16 v25, v25, -0.5, v26
	v_fma_f16 v26, v40, s0, v25
	v_sub_f16_e32 v19, v32, v19
	v_sub_f16_e32 v32, v37, v43
	v_fma_f16 v25, v40, s5, v25
	v_add_f16_e32 v60, v60, v79
	v_add_f16_e32 v19, v19, v32
	v_fma_f16 v25, v30, s1, v25
	v_add_f16_e32 v60, v60, v77
	v_fma_f16 v26, v30, s10, v26
	v_fma_f16 v77, v19, s4, v25
	v_add_f16_e32 v25, v46, v47
	v_fma_f16 v75, v19, s4, v26
	v_fma_f16 v25, v25, -0.5, v31
	v_sub_f16_e32 v26, v29, v49
	v_fma_f16 v30, v26, s0, v25
	v_sub_f16_e32 v32, v34, v39
	v_sub_f16_e32 v37, v50, v46
	;; [unrolled: 1-line block ×3, first 2 shown]
	v_fma_f16 v25, v26, s5, v25
	v_fma_f16 v30, v32, s1, v30
	v_add_f16_e32 v37, v37, v40
	v_fma_f16 v25, v32, s10, v25
	v_fma_f16 v30, v37, s4, v30
	;; [unrolled: 1-line block ×3, first 2 shown]
	v_add_f16_e32 v37, v50, v48
	v_add_f16_e32 v19, v31, v50
	v_fma_f16 v31, v37, -0.5, v31
	v_fma_f16 v37, v32, s5, v31
	v_fma_f16 v31, v32, s0, v31
	v_fma_f16 v37, v26, s1, v37
	v_fma_f16 v26, v26, s10, v31
	v_add_f16_e32 v31, v28, v29
	v_add_f16_e32 v31, v31, v34
	;; [unrolled: 1-line block ×3, first 2 shown]
	v_fma_f16 v45, v42, s4, v41
	v_sub_f16_e32 v40, v46, v50
	v_sub_f16_e32 v41, v47, v48
	v_add_f16_e32 v78, v31, v49
	v_add_f16_e32 v31, v34, v39
	;; [unrolled: 1-line block ×3, first 2 shown]
	v_fma_f16 v31, v31, -0.5, v28
	v_sub_f16_e32 v32, v50, v48
	v_fma_f16 v37, v40, s4, v37
	v_fma_f16 v26, v40, s4, v26
	;; [unrolled: 1-line block ×3, first 2 shown]
	v_sub_f16_e32 v41, v46, v47
	v_sub_f16_e32 v42, v29, v34
	;; [unrolled: 1-line block ×3, first 2 shown]
	v_fma_f16 v31, v32, s0, v31
	v_add_f16_e32 v19, v19, v46
	v_add_f16_e32 v42, v42, v43
	v_fma_f16 v31, v41, s1, v31
	v_add_f16_e32 v19, v19, v47
	v_fma_f16 v47, v42, s4, v31
	v_add_f16_e32 v31, v29, v49
	v_fma_f16 v28, v31, -0.5, v28
	v_fma_f16 v31, v41, s0, v28
	v_sub_f16_e32 v29, v34, v29
	v_sub_f16_e32 v34, v39, v49
	v_fma_f16 v28, v41, s5, v28
	v_fma_f16 v31, v32, s10, v31
	v_add_f16_e32 v29, v29, v34
	v_fma_f16 v28, v32, s1, v28
	v_add_f16_e32 v19, v19, v48
	v_fma_f16 v48, v29, s4, v31
	v_fma_f16 v49, v29, s4, v28
	v_add_f16_e32 v29, v55, v56
	v_fma_f16 v40, v41, s10, v40
	v_fma_f16 v29, v29, -0.5, v1
	v_sub_f16_e32 v31, v54, v44
	v_fma_f16 v46, v42, s4, v40
	v_fma_f16 v32, v31, s0, v29
	v_sub_f16_e32 v34, v51, v52
	v_sub_f16_e32 v39, v53, v55
	;; [unrolled: 1-line block ×3, first 2 shown]
	v_fma_f16 v29, v31, s5, v29
	v_fma_f16 v32, v34, s1, v32
	v_add_f16_e32 v39, v39, v40
	v_fma_f16 v29, v34, s10, v29
	v_fma_f16 v32, v39, s4, v32
	;; [unrolled: 1-line block ×3, first 2 shown]
	v_add_f16_e32 v39, v53, v57
	v_add_f16_e32 v28, v1, v53
	v_fma_f16 v1, v39, -0.5, v1
	v_fma_f16 v39, v34, s5, v1
	v_fma_f16 v1, v34, s0, v1
	;; [unrolled: 1-line block ×4, first 2 shown]
	v_add_f16_e32 v31, v76, v54
	v_add_f16_e32 v31, v31, v51
	;; [unrolled: 1-line block ×3, first 2 shown]
	v_sub_f16_e32 v40, v55, v53
	v_sub_f16_e32 v41, v56, v57
	v_add_f16_e32 v50, v31, v44
	v_add_f16_e32 v31, v51, v52
	;; [unrolled: 1-line block ×3, first 2 shown]
	v_fma_f16 v31, v31, -0.5, v76
	v_sub_f16_e32 v34, v53, v57
	v_fma_f16 v39, v40, s4, v39
	v_fma_f16 v1, v40, s4, v1
	;; [unrolled: 1-line block ×3, first 2 shown]
	v_sub_f16_e32 v41, v55, v56
	v_sub_f16_e32 v42, v54, v51
	;; [unrolled: 1-line block ×3, first 2 shown]
	v_fma_f16 v31, v34, s0, v31
	v_add_f16_e32 v42, v42, v43
	v_fma_f16 v31, v41, s1, v31
	ds_write_b16 v18, v58
	ds_write_b16 v18, v62 offset:34
	ds_write_b16 v18, v64 offset:68
	;; [unrolled: 1-line block ×9, first 2 shown]
	v_mov_b32_e32 v24, 1
	v_add_f16_e32 v28, v28, v55
	v_fma_f16 v55, v42, s4, v31
	v_add_f16_e32 v31, v54, v44
	v_lshlrev_b32_sdwa v10, v24, v10 dst_sel:DWORD dst_unused:UNUSED_PAD src0_sel:DWORD src1_sel:BYTE_0
	v_lshlrev_b32_sdwa v12, v24, v12 dst_sel:DWORD dst_unused:UNUSED_PAD src0_sel:DWORD src1_sel:BYTE_0
	v_fma_f16 v40, v41, s10, v40
	v_fma_f16 v31, v31, -0.5, v76
	v_add3_u32 v10, 0, v10, v0
	v_add3_u32 v12, 0, v12, v0
	v_add_f16_e32 v28, v28, v56
	v_fma_f16 v53, v42, s4, v40
	v_fma_f16 v40, v41, s0, v31
	v_sub_f16_e32 v42, v51, v54
	v_sub_f16_e32 v43, v52, v44
	v_fma_f16 v31, v41, s5, v31
	ds_write_b16 v10, v20 offset:340
	ds_write_b16 v10, v23 offset:374
	;; [unrolled: 1-line block ×10, first 2 shown]
	v_lshlrev_b32_sdwa v19, v24, v35 dst_sel:DWORD dst_unused:UNUSED_PAD src0_sel:DWORD src1_sel:BYTE_0
	v_add_f16_e32 v28, v28, v57
	v_fma_f16 v40, v34, s10, v40
	v_add_f16_e32 v42, v42, v43
	v_fma_f16 v31, v34, s1, v31
	v_add3_u32 v0, 0, v19, v0
	v_fma_f16 v51, v42, s4, v40
	v_fma_f16 v52, v42, s4, v31
	ds_write_b16 v0, v28 offset:680
	ds_write_b16 v0, v32 offset:714
	;; [unrolled: 1-line block ×5, first 2 shown]
	s_waitcnt lgkmcnt(0)
	; wave barrier
	s_waitcnt lgkmcnt(0)
	ds_read_u16 v28, v18 offset:204
	ds_read_u16 v31, v18 offset:238
	ds_read_u16 v19, v15
	ds_read_u16 v24, v18 offset:34
	ds_read_u16 v30, v18 offset:68
	;; [unrolled: 1-line block ×22, first 2 shown]
	v_add_f16_e32 v60, v60, v81
	s_waitcnt lgkmcnt(0)
	; wave barrier
	s_waitcnt lgkmcnt(0)
	ds_write_b16 v18, v60
	ds_write_b16 v18, v67 offset:34
	ds_write_b16 v18, v68 offset:68
	;; [unrolled: 1-line block ×24, first 2 shown]
	s_waitcnt lgkmcnt(0)
	; wave barrier
	s_waitcnt lgkmcnt(0)
	s_and_saveexec_b64 s[12:13], vcc
	s_cbranch_execz .LBB0_20
; %bb.19:
	v_lshlrev_b32_e32 v10, 2, v2
	v_lshl_add_u64 v[0:1], v[10:11], 2, s[8:9]
	global_load_dwordx4 v[0:3], v[0:1], off offset:272
	v_lshlrev_b32_e32 v10, 2, v17
	v_mul_lo_u32 v45, s3, v4
	v_mul_lo_u32 v50, s2, v5
	v_mad_u64_u32 v[12:13], s[2:3], s2, v4, 0
	v_lshl_add_u64 v[4:5], v[10:11], 2, s[8:9]
	ds_read_u16 v51, v18 offset:816
	ds_read_u16 v54, v18 offset:510
	;; [unrolled: 1-line block ×18, first 2 shown]
	global_load_dwordx4 v[46:49], v[4:5], off offset:272
	ds_read_u16 v10, v18 offset:136
	ds_read_u16 v69, v18 offset:102
	v_add3_u32 v13, v13, v50, v45
	global_load_dwordx4 v[4:7], v[6:7], off offset:272
	ds_read_u16 v15, v15
	s_waitcnt vmcnt(2)
	v_mul_f16_sdwa v17, v36, v0 dst_sel:DWORD dst_unused:UNUSED_PAD src0_sel:DWORD src1_sel:WORD_1
	v_mul_f16_sdwa v45, v37, v1 dst_sel:DWORD dst_unused:UNUSED_PAD src0_sel:DWORD src1_sel:WORD_1
	;; [unrolled: 1-line block ×4, first 2 shown]
	s_waitcnt lgkmcnt(14)
	v_mul_f16_sdwa v71, v52, v1 dst_sel:DWORD dst_unused:UNUSED_PAD src0_sel:DWORD src1_sel:WORD_1
	s_waitcnt lgkmcnt(7)
	v_mul_f16_sdwa v72, v64, v2 dst_sel:DWORD dst_unused:UNUSED_PAD src0_sel:DWORD src1_sel:WORD_1
	v_mul_f16_sdwa v73, v53, v0 dst_sel:DWORD dst_unused:UNUSED_PAD src0_sel:DWORD src1_sel:WORD_1
	;; [unrolled: 1-line block ×3, first 2 shown]
	v_fma_f16 v53, v53, v0, v17
	v_fma_f16 v45, v52, v1, v45
	;; [unrolled: 1-line block ×4, first 2 shown]
	v_fma_f16 v52, v37, v1, -v71
	v_fma_f16 v64, v39, v2, -v72
	v_fma_f16 v70, v36, v0, -v73
	v_fma_f16 v71, v38, v3, -v74
	v_sub_f16_e32 v0, v53, v45
	v_sub_f16_e32 v1, v50, v51
	v_add_f16_e32 v2, v45, v51
	v_add_f16_e32 v75, v53, v50
	v_sub_f16_e32 v37, v52, v64
	v_sub_f16_e32 v3, v70, v52
	;; [unrolled: 1-line block ×5, first 2 shown]
	v_add_f16_e32 v78, v70, v71
	v_add_f16_e32 v79, v0, v1
	s_waitcnt lgkmcnt(2)
	v_fma_f16 v80, v2, -0.5, v10
	v_fma_f16 v0, v75, -0.5, v10
	v_add_f16_e32 v10, v53, v10
	v_sub_f16_e32 v38, v70, v71
	v_add_f16_e32 v36, v52, v64
	v_sub_f16_e32 v72, v45, v51
	v_add_f16_e32 v81, v3, v17
	v_add_f16_e32 v17, v73, v74
	v_fma_f16 v1, v78, -0.5, v44
	v_fma_f16 v73, v37, s5, v0
	v_fma_f16 v0, v37, s0, v0
	v_add_f16_e32 v10, v45, v10
	v_sub_f16_e32 v39, v53, v50
	v_sub_f16_e32 v76, v52, v70
	;; [unrolled: 1-line block ×3, first 2 shown]
	v_fma_f16 v82, v36, -0.5, v44
	v_fma_f16 v2, v38, s0, v80
	v_fma_f16 v74, v72, s0, v1
	;; [unrolled: 1-line block ×6, first 2 shown]
	v_add_f16_e32 v10, v51, v10
	v_add_f16_e32 v36, v76, v77
	v_fma_f16 v3, v39, s5, v82
	v_fma_f16 v2, v37, s1, v2
	;; [unrolled: 1-line block ×6, first 2 shown]
	v_add_f16_e32 v39, v50, v10
	v_add_f16_e32 v10, v44, v70
	;; [unrolled: 1-line block ×3, first 2 shown]
	v_lshlrev_b32_e32 v10, 2, v16
	v_lshl_add_u64 v[44:45], v[10:11], 2, s[8:9]
	global_load_dwordx4 v[50:53], v[44:45], off offset:272
	s_waitcnt vmcnt(2)
	v_mul_f16_sdwa v44, v42, v47 dst_sel:DWORD dst_unused:UNUSED_PAD src0_sel:DWORD src1_sel:WORD_1
	v_fma_f16 v44, v55, v47, v44
	v_mul_f16_sdwa v55, v55, v47 dst_sel:DWORD dst_unused:UNUSED_PAD src0_sel:DWORD src1_sel:WORD_1
	v_add_f16_e32 v10, v70, v64
	v_mul_f16_sdwa v70, v43, v48 dst_sel:DWORD dst_unused:UNUSED_PAD src0_sel:DWORD src1_sel:WORD_1
	v_fma_f16 v47, v42, v47, -v55
	v_mul_f16_sdwa v42, v65, v48 dst_sel:DWORD dst_unused:UNUSED_PAD src0_sel:DWORD src1_sel:WORD_1
	v_add_f16_e32 v16, v71, v10
	v_mul_f16_sdwa v10, v40, v46 dst_sel:DWORD dst_unused:UNUSED_PAD src0_sel:DWORD src1_sel:WORD_1
	v_fma_f16 v70, v65, v48, v70
	v_fma_f16 v48, v43, v48, -v42
	v_mul_f16_sdwa v43, v59, v46 dst_sel:DWORD dst_unused:UNUSED_PAD src0_sel:DWORD src1_sel:WORD_1
	v_fma_f16 v10, v59, v46, v10
	v_mul_f16_sdwa v64, v41, v49 dst_sel:DWORD dst_unused:UNUSED_PAD src0_sel:DWORD src1_sel:WORD_1
	v_fma_f16 v46, v40, v46, -v43
	v_mul_f16_sdwa v40, v60, v49 dst_sel:DWORD dst_unused:UNUSED_PAD src0_sel:DWORD src1_sel:WORD_1
	v_fma_f16 v3, v72, s10, v3
	v_fma_f16 v64, v60, v49, v64
	v_fma_f16 v49, v41, v49, -v40
	v_add_f16_e32 v41, v44, v70
	v_fma_f16 v0, v79, s4, v2
	v_fma_f16 v1, v81, s4, v3
	;; [unrolled: 1-line block ×5, first 2 shown]
	v_sub_f16_e32 v40, v46, v49
	s_waitcnt lgkmcnt(1)
	v_fma_f16 v41, v41, -0.5, v69
	v_sub_f16_e32 v74, v44, v10
	v_sub_f16_e32 v75, v70, v64
	v_fma_f16 v38, v72, s1, v38
	v_sub_f16_e32 v45, v10, v44
	v_sub_f16_e32 v72, v64, v70
	;; [unrolled: 1-line block ×3, first 2 shown]
	v_fma_f16 v43, v40, s0, v41
	v_sub_f16_e32 v65, v10, v64
	v_add_f16_e32 v74, v74, v75
	v_add_f16_e32 v75, v10, v64
	;; [unrolled: 1-line block ×4, first 2 shown]
	v_fma_f16 v43, v42, s1, v43
	v_fma_f16 v75, v75, -0.5, v69
	v_add_f16_e32 v10, v44, v10
	v_fma_f16 v36, v36, s4, v76
	v_fma_f16 v59, v45, s4, v43
	v_sub_f16_e32 v43, v46, v47
	v_sub_f16_e32 v60, v49, v48
	v_fma_f16 v76, v42, s5, v75
	v_fma_f16 v75, v42, s0, v75
	v_add_f16_e32 v10, v70, v10
	v_add_f16_e32 v60, v43, v60
	;; [unrolled: 1-line block ×3, first 2 shown]
	v_sub_f16_e32 v73, v44, v70
	v_fma_f16 v76, v40, s1, v76
	v_fma_f16 v75, v40, s10, v75
	;; [unrolled: 1-line block ×3, first 2 shown]
	v_add_f16_e32 v44, v64, v10
	v_lshlrev_b32_e32 v10, 2, v27
	v_fma_f16 v43, v43, -0.5, v35
	v_fma_f16 v40, v42, s10, v40
	v_lshl_add_u64 v[10:11], v[10:11], 2, s[8:9]
	v_fma_f16 v72, v65, s5, v43
	v_fma_f16 v45, v45, s4, v40
	;; [unrolled: 1-line block ×3, first 2 shown]
	global_load_dwordx4 v[40:43], v[10:11], off offset:272
	ds_read_u16 v71, v18 offset:578
	v_fma_f16 v10, v73, s1, v64
	v_fma_f16 v27, v60, s4, v10
	v_add_f16_e32 v10, v35, v46
	v_sub_f16_e32 v77, v47, v46
	v_sub_f16_e32 v78, v48, v49
	v_add_f16_e32 v10, v10, v47
	v_add_f16_e32 v77, v77, v78
	;; [unrolled: 1-line block ×4, first 2 shown]
	ds_read_u16 v48, v18 offset:544
	v_fma_f16 v78, v78, -0.5, v35
	v_add_f16_e32 v35, v49, v10
	ds_read_u16 v55, v18 offset:68
	v_fma_f16 v72, v73, s10, v72
	s_waitcnt vmcnt(1)
	v_mul_f16_sdwa v10, v32, v51 dst_sel:DWORD dst_unused:UNUSED_PAD src0_sel:DWORD src1_sel:WORD_1
	v_mul_f16_sdwa v11, v31, v50 dst_sel:DWORD dst_unused:UNUSED_PAD src0_sel:DWORD src1_sel:WORD_1
	;; [unrolled: 1-line block ×4, first 2 shown]
	v_fma_f16 v10, v56, v51, v10
	v_fma_f16 v11, v66, v50, v11
	s_waitcnt lgkmcnt(2)
	v_fma_f16 v47, v71, v52, v47
	v_fma_f16 v49, v61, v53, v49
	;; [unrolled: 1-line block ×3, first 2 shown]
	v_sub_f16_e32 v46, v10, v11
	v_sub_f16_e32 v60, v47, v49
	v_add_f16_e32 v46, v46, v60
	v_mul_f16_sdwa v60, v66, v50 dst_sel:DWORD dst_unused:UNUSED_PAD src0_sel:DWORD src1_sel:WORD_1
	v_mul_f16_sdwa v56, v56, v51 dst_sel:DWORD dst_unused:UNUSED_PAD src0_sel:DWORD src1_sel:WORD_1
	v_fma_f16 v31, v31, v50, -v60
	v_mul_f16_sdwa v50, v61, v53 dst_sel:DWORD dst_unused:UNUSED_PAD src0_sel:DWORD src1_sel:WORD_1
	v_fma_f16 v32, v32, v51, -v56
	;; [unrolled: 2-line block ×3, first 2 shown]
	v_add_f16_e32 v53, v11, v49
	v_fma_f16 v33, v33, v52, -v51
	s_waitcnt lgkmcnt(0)
	v_fma_f16 v53, v53, -0.5, v55
	v_sub_f16_e32 v51, v32, v33
	v_sub_f16_e32 v50, v31, v34
	v_fma_f16 v52, v51, s5, v53
	v_fma_f16 v53, v51, s0, v53
	;; [unrolled: 1-line block ×6, first 2 shown]
	v_sub_f16_e32 v53, v11, v10
	v_sub_f16_e32 v56, v49, v47
	v_add_f16_e32 v53, v53, v56
	v_add_f16_e32 v56, v10, v47
	v_fma_f16 v56, v56, -0.5, v55
	v_fma_f16 v60, v50, s0, v56
	v_fma_f16 v50, v50, s5, v56
	;; [unrolled: 1-line block ×6, first 2 shown]
	v_add_f16_e32 v51, v11, v55
	v_sub_f16_e32 v53, v32, v31
	v_sub_f16_e32 v55, v33, v34
	v_add_f16_e32 v51, v10, v51
	v_add_f16_e32 v53, v53, v55
	;; [unrolled: 1-line block ×4, first 2 shown]
	v_fma_f16 v55, v55, -0.5, v30
	v_sub_f16_e32 v10, v10, v47
	v_add_f16_e32 v51, v49, v51
	v_fma_f16 v47, v10, s0, v55
	v_sub_f16_e32 v11, v11, v49
	v_fma_f16 v49, v10, s5, v55
	v_fma_f16 v47, v11, s10, v47
	;; [unrolled: 1-line block ×5, first 2 shown]
	v_sub_f16_e32 v53, v31, v32
	v_sub_f16_e32 v55, v34, v33
	v_add_f16_e32 v53, v53, v55
	v_add_f16_e32 v55, v32, v33
	v_fma_f16 v55, v55, -0.5, v30
	v_fma_f16 v56, v11, s5, v55
	v_fma_f16 v11, v11, s0, v55
	v_fma_f16 v56, v10, s10, v56
	v_fma_f16 v10, v10, s1, v11
	v_fma_f16 v56, v53, s4, v56
	v_fma_f16 v53, v53, s4, v10
	v_add_f16_e32 v10, v30, v31
	v_add_f16_e32 v10, v32, v10
	;; [unrolled: 1-line block ×4, first 2 shown]
	s_waitcnt vmcnt(0)
	v_mul_f16_sdwa v10, v25, v41 dst_sel:DWORD dst_unused:UNUSED_PAD src0_sel:DWORD src1_sel:WORD_1
	v_mul_f16_sdwa v11, v28, v40 dst_sel:DWORD dst_unused:UNUSED_PAD src0_sel:DWORD src1_sel:WORD_1
	;; [unrolled: 1-line block ×4, first 2 shown]
	v_fma_f16 v10, v57, v41, v10
	v_fma_f16 v11, v67, v40, v11
	v_fma_f16 v32, v48, v42, v32
	v_fma_f16 v33, v62, v43, v33
	v_sub_f16_e32 v31, v10, v11
	v_sub_f16_e32 v34, v32, v33
	v_add_f16_e32 v31, v31, v34
	v_mul_f16_sdwa v34, v67, v40 dst_sel:DWORD dst_unused:UNUSED_PAD src0_sel:DWORD src1_sel:WORD_1
	ds_read_u16 v18, v18 offset:34
	v_fma_f16 v28, v28, v40, -v34
	v_mul_f16_sdwa v34, v62, v43 dst_sel:DWORD dst_unused:UNUSED_PAD src0_sel:DWORD src1_sel:WORD_1
	v_fma_f16 v29, v29, v43, -v34
	v_mul_f16_sdwa v43, v57, v41 dst_sel:DWORD dst_unused:UNUSED_PAD src0_sel:DWORD src1_sel:WORD_1
	;; [unrolled: 2-line block ×3, first 2 shown]
	v_add_f16_e32 v40, v11, v33
	v_fma_f16 v26, v26, v42, -v41
	s_waitcnt lgkmcnt(0)
	v_fma_f16 v40, v40, -0.5, v18
	v_sub_f16_e32 v41, v25, v26
	v_sub_f16_e32 v43, v25, v28
	;; [unrolled: 1-line block ×4, first 2 shown]
	v_fma_f16 v42, v41, s5, v40
	v_add_f16_e32 v43, v43, v48
	v_add_f16_e32 v48, v28, v29
	v_fma_f16 v40, v41, s0, v40
	v_fma_f16 v42, v34, s1, v42
	v_fma_f16 v48, v48, -0.5, v24
	v_sub_f16_e32 v55, v10, v32
	v_fma_f16 v40, v34, s10, v40
	v_fma_f16 v42, v31, s4, v42
	;; [unrolled: 1-line block ×3, first 2 shown]
	v_sub_f16_e32 v61, v11, v33
	v_fma_f16 v31, v31, s4, v40
	v_fma_f16 v40, v55, s5, v48
	;; [unrolled: 1-line block ×6, first 2 shown]
	v_sub_f16_e32 v43, v11, v10
	v_sub_f16_e32 v48, v33, v32
	v_add_f16_e32 v11, v11, v18
	v_add_f16_e32 v43, v43, v48
	;; [unrolled: 1-line block ×5, first 2 shown]
	v_fma_f16 v37, v79, s4, v37
	v_fma_f16 v76, v74, s4, v76
	;; [unrolled: 1-line block ×5, first 2 shown]
	v_fma_f16 v48, v48, -0.5, v18
	v_add_f16_e32 v18, v33, v10
	v_add_f16_e32 v10, v24, v28
	v_fma_f16 v79, v65, s10, v79
	v_fma_f16 v75, v65, s1, v75
	v_sub_f16_e32 v64, v28, v25
	v_sub_f16_e32 v65, v29, v26
	v_add_f16_e32 v10, v25, v10
	v_add_f16_e32 v64, v64, v65
	v_add_f16_e32 v65, v25, v26
	v_add_f16_e32 v10, v10, v26
	v_fma_f16 v65, v65, -0.5, v24
	v_add_f16_e32 v24, v10, v29
	v_fma_f16 v10, v34, s0, v48
	v_fma_f16 v10, v41, s1, v10
	;; [unrolled: 1-line block ×6, first 2 shown]
	v_mul_f16_sdwa v10, v20, v4 dst_sel:DWORD dst_unused:UNUSED_PAD src0_sel:DWORD src1_sel:WORD_1
	v_mul_f16_sdwa v11, v23, v5 dst_sel:DWORD dst_unused:UNUSED_PAD src0_sel:DWORD src1_sel:WORD_1
	;; [unrolled: 1-line block ×4, first 2 shown]
	v_fma_f16 v10, v68, v4, v10
	v_fma_f16 v11, v58, v5, v11
	;; [unrolled: 1-line block ×4, first 2 shown]
	v_sub_f16_e32 v28, v10, v11
	v_sub_f16_e32 v33, v29, v32
	v_add_f16_e32 v28, v28, v33
	v_mul_f16_sdwa v33, v58, v5 dst_sel:DWORD dst_unused:UNUSED_PAD src0_sel:DWORD src1_sel:WORD_1
	v_fma_f16 v5, v23, v5, -v33
	v_mul_f16_sdwa v23, v54, v6 dst_sel:DWORD dst_unused:UNUSED_PAD src0_sel:DWORD src1_sel:WORD_1
	v_fma_f16 v66, v61, s0, v65
	v_fma_f16 v6, v21, v6, -v23
	v_mul_f16_sdwa v23, v68, v4 dst_sel:DWORD dst_unused:UNUSED_PAD src0_sel:DWORD src1_sel:WORD_1
	v_fma_f16 v66, v55, s1, v66
	v_fma_f16 v4, v20, v4, -v23
	v_mul_f16_sdwa v20, v63, v7 dst_sel:DWORD dst_unused:UNUSED_PAD src0_sel:DWORD src1_sel:WORD_1
	v_sub_f16_e32 v54, v11, v10
	v_sub_f16_e32 v55, v32, v29
	v_fma_f16 v7, v22, v7, -v20
	v_add_f16_e32 v54, v54, v55
	v_add_f16_e32 v55, v10, v29
	v_fma_f16 v62, v34, s5, v48
	v_sub_f16_e32 v21, v5, v6
	v_add_f16_e32 v22, v11, v32
	v_sub_f16_e32 v33, v4, v5
	v_sub_f16_e32 v34, v7, v6
	v_fma_f16 v55, v55, -0.5, v15
	v_sub_f16_e32 v61, v5, v4
	v_sub_f16_e32 v63, v6, v7
	v_sub_f16_e32 v20, v4, v7
	v_fma_f16 v22, v22, -0.5, v15
	v_add_f16_e32 v33, v33, v34
	v_add_f16_e32 v34, v5, v6
	v_fma_f16 v58, v21, s5, v55
	v_add_f16_e32 v61, v61, v63
	v_add_f16_e32 v63, v4, v7
	v_fma_f16 v55, v21, s0, v55
	v_add_f16_e32 v4, v19, v4
	v_fma_f16 v62, v41, s10, v62
	v_fma_f16 v23, v20, s0, v22
	v_fma_f16 v34, v34, -0.5, v19
	v_sub_f16_e32 v41, v10, v29
	v_sub_f16_e32 v48, v11, v32
	v_fma_f16 v58, v20, s1, v58
	v_fma_f16 v63, v63, -0.5, v19
	v_fma_f16 v55, v20, s10, v55
	v_fma_f16 v20, v20, s5, v22
	v_add_f16_e32 v4, v4, v5
	v_fma_f16 v66, v64, s4, v66
	v_fma_f16 v23, v21, s1, v23
	;; [unrolled: 1-line block ×5, first 2 shown]
	v_add_f16_e32 v10, v10, v15
	v_add_f16_e32 v4, v4, v6
	s_mov_b32 s0, 0xc0c0c0c1
	v_fma_f16 v58, v54, s4, v58
	v_fma_f16 v54, v54, s4, v55
	;; [unrolled: 1-line block ×3, first 2 shown]
	v_add_f16_e32 v10, v11, v10
	v_add_f16_e32 v11, v7, v4
	v_mul_hi_u32 v4, v14, s0
	v_fma_f16 v55, v41, s1, v55
	v_fma_f16 v21, v48, s1, v21
	v_lshrrev_b32_e32 v4, 6, v4
	s_movk_i32 s1, 0x55
	v_mul_lo_u32 v4, v4, s1
	v_sub_u32_e32 v15, v14, v4
	v_mad_u64_u32 v[4:5], s[2:3], s16, v15, 0
	v_mov_b32_e32 v6, v5
	v_mad_u64_u32 v[6:7], s[2:3], s17, v15, v[6:7]
	v_add_f16_e32 v10, v32, v10
	v_mov_b32_e32 v5, v6
	v_lshl_add_u64 v[6:7], v[12:13], 2, s[6:7]
	v_add_f16_e32 v10, v29, v10
	v_lshl_add_u64 v[6:7], v[8:9], 2, v[6:7]
	v_lshl_add_u64 v[4:5], v[4:5], 2, v[6:7]
	v_pack_b32_f16 v8, v11, v10
	v_add_u32_e32 v9, 0x55, v15
	global_store_dword v[4:5], v8, off
	v_mad_u64_u32 v[4:5], s[2:3], s16, v9, 0
	v_mov_b32_e32 v8, v5
	v_mad_u64_u32 v[8:9], s[2:3], s17, v9, v[8:9]
	v_fma_f16 v20, v28, s4, v20
	v_fma_f16 v21, v33, s4, v21
	v_mov_b32_e32 v5, v8
	v_lshl_add_u64 v[4:5], v[4:5], 2, v[6:7]
	v_pack_b32_f16 v8, v21, v20
	v_add_u32_e32 v9, 0xaa, v15
	global_store_dword v[4:5], v8, off
	v_mad_u64_u32 v[4:5], s[2:3], s16, v9, 0
	v_mov_b32_e32 v8, v5
	v_mad_u64_u32 v[8:9], s[2:3], s17, v9, v[8:9]
	v_fma_f16 v55, v61, s4, v55
	v_mov_b32_e32 v5, v8
	v_lshl_add_u64 v[4:5], v[4:5], 2, v[6:7]
	v_pack_b32_f16 v8, v55, v54
	v_add_u32_e32 v9, 0xff, v15
	global_store_dword v[4:5], v8, off
	v_mad_u64_u32 v[4:5], s[2:3], s16, v9, 0
	v_mov_b32_e32 v8, v5
	v_fma_f16 v64, v41, s10, v64
	v_mad_u64_u32 v[8:9], s[2:3], s17, v9, v[8:9]
	v_fma_f16 v64, v61, s4, v64
	v_mov_b32_e32 v5, v8
	v_lshl_add_u64 v[4:5], v[4:5], 2, v[6:7]
	v_pack_b32_f16 v8, v64, v58
	v_add_u32_e32 v9, 0x154, v15
	global_store_dword v[4:5], v8, off
	v_mad_u64_u32 v[4:5], s[2:3], s16, v9, 0
	v_fma_f16 v62, v43, s4, v62
	v_fma_f16 v43, v41, s5, v34
	v_mov_b32_e32 v8, v5
	v_fma_f16 v43, v48, s10, v43
	v_mad_u64_u32 v[8:9], s[2:3], s17, v9, v[8:9]
	v_fma_f16 v23, v28, s4, v23
	v_fma_f16 v43, v33, s4, v43
	v_mov_b32_e32 v5, v8
	v_lshl_add_u64 v[4:5], v[4:5], 2, v[6:7]
	v_pack_b32_f16 v8, v43, v23
	global_store_dword v[4:5], v8, off
	v_add_u32_e32 v4, 17, v14
	v_mul_hi_u32 v5, v4, s0
	v_lshrrev_b32_e32 v5, 6, v5
	v_mul_lo_u32 v8, v5, s1
	v_fma_f16 v38, v81, s4, v38
	v_fma_f16 v79, v77, s4, v79
	;; [unrolled: 1-line block ×3, first 2 shown]
	v_sub_u32_e32 v4, v4, v8
	s_movk_i32 s4, 0x1a9
	v_mad_u64_u32 v[4:5], s[2:3], v5, s4, v[4:5]
	v_mad_u64_u32 v[8:9], s[2:3], s16, v4, 0
	v_mov_b32_e32 v10, v9
	v_mad_u64_u32 v[10:11], s[2:3], s17, v4, v[10:11]
	v_mov_b32_e32 v9, v10
	v_lshl_add_u64 v[8:9], v[8:9], 2, v[6:7]
	v_pack_b32_f16 v5, v24, v18
	global_store_dword v[8:9], v5, off
	v_add_u32_e32 v5, 0x55, v4
	v_mad_u64_u32 v[8:9], s[2:3], s16, v5, 0
	v_mov_b32_e32 v10, v9
	v_mad_u64_u32 v[10:11], s[2:3], s17, v5, v[10:11]
	v_mov_b32_e32 v9, v10
	v_lshl_add_u64 v[8:9], v[8:9], 2, v[6:7]
	v_pack_b32_f16 v5, v66, v62
	global_store_dword v[8:9], v5, off
	v_add_u32_e32 v5, 0xaa, v4
	v_mad_u64_u32 v[8:9], s[2:3], s16, v5, 0
	v_mov_b32_e32 v10, v9
	v_mad_u64_u32 v[10:11], s[2:3], s17, v5, v[10:11]
	v_mov_b32_e32 v9, v10
	v_lshl_add_u64 v[8:9], v[8:9], 2, v[6:7]
	v_pack_b32_f16 v5, v40, v31
	global_store_dword v[8:9], v5, off
	v_add_u32_e32 v5, 0xff, v4
	v_mad_u64_u32 v[8:9], s[2:3], s16, v5, 0
	v_mov_b32_e32 v10, v9
	v_mad_u64_u32 v[10:11], s[2:3], s17, v5, v[10:11]
	v_mov_b32_e32 v9, v10
	v_lshl_add_u64 v[8:9], v[8:9], 2, v[6:7]
	v_pack_b32_f16 v5, v57, v42
	global_store_dword v[8:9], v5, off
	v_add_u32_e32 v9, 0x154, v4
	v_mad_u64_u32 v[4:5], s[2:3], s16, v9, 0
	v_mov_b32_e32 v8, v5
	v_mad_u64_u32 v[8:9], s[2:3], s17, v9, v[8:9]
	v_mov_b32_e32 v5, v8
	v_lshl_add_u64 v[4:5], v[4:5], 2, v[6:7]
	v_pack_b32_f16 v8, v26, v25
	global_store_dword v[4:5], v8, off
	v_add_u32_e32 v4, 34, v14
	v_mul_hi_u32 v5, v4, s0
	v_lshrrev_b32_e32 v5, 6, v5
	v_mul_lo_u32 v8, v5, s1
	v_sub_u32_e32 v4, v4, v8
	v_mad_u64_u32 v[4:5], s[2:3], v5, s4, v[4:5]
	v_mad_u64_u32 v[8:9], s[2:3], s16, v4, 0
	v_mov_b32_e32 v10, v9
	v_mad_u64_u32 v[10:11], s[2:3], s17, v4, v[10:11]
	v_mov_b32_e32 v9, v10
	v_lshl_add_u64 v[8:9], v[8:9], 2, v[6:7]
	v_pack_b32_f16 v5, v30, v51
	global_store_dword v[8:9], v5, off
	v_add_u32_e32 v5, 0x55, v4
	v_mad_u64_u32 v[8:9], s[2:3], s16, v5, 0
	v_mov_b32_e32 v10, v9
	v_mad_u64_u32 v[10:11], s[2:3], s17, v5, v[10:11]
	v_mov_b32_e32 v9, v10
	v_lshl_add_u64 v[8:9], v[8:9], 2, v[6:7]
	v_pack_b32_f16 v5, v53, v50
	global_store_dword v[8:9], v5, off
	v_add_u32_e32 v5, 0xaa, v4
	v_mad_u64_u32 v[8:9], s[2:3], s16, v5, 0
	v_mov_b32_e32 v10, v9
	v_mad_u64_u32 v[10:11], s[2:3], s17, v5, v[10:11]
	v_mov_b32_e32 v9, v10
	v_lshl_add_u64 v[8:9], v[8:9], 2, v[6:7]
	v_pack_b32_f16 v5, v49, v46
	global_store_dword v[8:9], v5, off
	v_add_u32_e32 v5, 0xff, v4
	v_mad_u64_u32 v[8:9], s[2:3], s16, v5, 0
	v_mov_b32_e32 v10, v9
	v_mad_u64_u32 v[10:11], s[2:3], s17, v5, v[10:11]
	v_mov_b32_e32 v9, v10
	v_lshl_add_u64 v[8:9], v[8:9], 2, v[6:7]
	v_pack_b32_f16 v5, v47, v52
	global_store_dword v[8:9], v5, off
	v_add_u32_e32 v9, 0x154, v4
	v_mad_u64_u32 v[4:5], s[2:3], s16, v9, 0
	v_mov_b32_e32 v8, v5
	v_mad_u64_u32 v[8:9], s[2:3], s17, v9, v[8:9]
	v_mov_b32_e32 v5, v8
	v_lshl_add_u64 v[4:5], v[4:5], 2, v[6:7]
	v_pack_b32_f16 v8, v56, v60
	global_store_dword v[4:5], v8, off
	v_add_u32_e32 v4, 51, v14
	v_mul_hi_u32 v5, v4, s0
	v_lshrrev_b32_e32 v5, 6, v5
	v_mul_lo_u32 v8, v5, s1
	v_sub_u32_e32 v4, v4, v8
	;; [unrolled: 45-line block ×3, first 2 shown]
	v_mad_u64_u32 v[4:5], s[0:1], v5, s4, v[4:5]
	v_mad_u64_u32 v[8:9], s[0:1], s16, v4, 0
	v_mov_b32_e32 v10, v9
	v_mad_u64_u32 v[10:11], s[0:1], s17, v4, v[10:11]
	v_mov_b32_e32 v9, v10
	v_lshl_add_u64 v[8:9], v[8:9], 2, v[6:7]
	v_pack_b32_f16 v5, v16, v39
	global_store_dword v[8:9], v5, off
	v_add_u32_e32 v5, 0x55, v4
	v_mad_u64_u32 v[8:9], s[0:1], s16, v5, 0
	v_mov_b32_e32 v10, v9
	v_mad_u64_u32 v[10:11], s[0:1], s17, v5, v[10:11]
	v_mov_b32_e32 v9, v10
	v_lshl_add_u64 v[8:9], v[8:9], 2, v[6:7]
	v_pack_b32_f16 v5, v38, v37
	global_store_dword v[8:9], v5, off
	v_add_u32_e32 v5, 0xaa, v4
	v_mad_u64_u32 v[8:9], s[0:1], s16, v5, 0
	v_mov_b32_e32 v10, v9
	v_mad_u64_u32 v[10:11], s[0:1], s17, v5, v[10:11]
	v_mov_b32_e32 v9, v10
	v_lshl_add_u64 v[8:9], v[8:9], 2, v[6:7]
	v_pack_b32_f16 v5, v36, v17
	global_store_dword v[8:9], v5, off
	v_add_u32_e32 v5, 0xff, v4
	v_mad_u64_u32 v[8:9], s[0:1], s16, v5, 0
	v_mov_b32_e32 v10, v9
	v_mad_u64_u32 v[10:11], s[0:1], s17, v5, v[10:11]
	v_mov_b32_e32 v9, v10
	v_lshl_add_u64 v[8:9], v[8:9], 2, v[6:7]
	v_pack_b32_f16 v2, v3, v2
	v_add_u32_e32 v5, 0x154, v4
	global_store_dword v[8:9], v2, off
	v_mad_u64_u32 v[2:3], s[0:1], s16, v5, 0
	v_mov_b32_e32 v4, v3
	v_mad_u64_u32 v[4:5], s[0:1], s17, v5, v[4:5]
	v_mov_b32_e32 v3, v4
	v_lshl_add_u64 v[2:3], v[2:3], 2, v[6:7]
	v_pack_b32_f16 v0, v1, v0
	global_store_dword v[2:3], v0, off
.LBB0_20:
	s_endpgm
	.section	.rodata,"a",@progbits
	.p2align	6, 0x0
	.amdhsa_kernel fft_rtc_fwd_len425_factors_17_5_5_wgs_51_tpt_17_halfLds_half_op_CI_CI_sbrr_dirReg
		.amdhsa_group_segment_fixed_size 0
		.amdhsa_private_segment_fixed_size 0
		.amdhsa_kernarg_size 104
		.amdhsa_user_sgpr_count 2
		.amdhsa_user_sgpr_dispatch_ptr 0
		.amdhsa_user_sgpr_queue_ptr 0
		.amdhsa_user_sgpr_kernarg_segment_ptr 1
		.amdhsa_user_sgpr_dispatch_id 0
		.amdhsa_user_sgpr_kernarg_preload_length 0
		.amdhsa_user_sgpr_kernarg_preload_offset 0
		.amdhsa_user_sgpr_private_segment_size 0
		.amdhsa_uses_dynamic_stack 0
		.amdhsa_enable_private_segment 0
		.amdhsa_system_sgpr_workgroup_id_x 1
		.amdhsa_system_sgpr_workgroup_id_y 0
		.amdhsa_system_sgpr_workgroup_id_z 0
		.amdhsa_system_sgpr_workgroup_info 0
		.amdhsa_system_vgpr_workitem_id 0
		.amdhsa_next_free_vgpr 163
		.amdhsa_next_free_sgpr 86
		.amdhsa_accum_offset 164
		.amdhsa_reserve_vcc 1
		.amdhsa_float_round_mode_32 0
		.amdhsa_float_round_mode_16_64 0
		.amdhsa_float_denorm_mode_32 3
		.amdhsa_float_denorm_mode_16_64 3
		.amdhsa_dx10_clamp 1
		.amdhsa_ieee_mode 1
		.amdhsa_fp16_overflow 0
		.amdhsa_tg_split 0
		.amdhsa_exception_fp_ieee_invalid_op 0
		.amdhsa_exception_fp_denorm_src 0
		.amdhsa_exception_fp_ieee_div_zero 0
		.amdhsa_exception_fp_ieee_overflow 0
		.amdhsa_exception_fp_ieee_underflow 0
		.amdhsa_exception_fp_ieee_inexact 0
		.amdhsa_exception_int_div_zero 0
	.end_amdhsa_kernel
	.text
.Lfunc_end0:
	.size	fft_rtc_fwd_len425_factors_17_5_5_wgs_51_tpt_17_halfLds_half_op_CI_CI_sbrr_dirReg, .Lfunc_end0-fft_rtc_fwd_len425_factors_17_5_5_wgs_51_tpt_17_halfLds_half_op_CI_CI_sbrr_dirReg
                                        ; -- End function
	.section	.AMDGPU.csdata,"",@progbits
; Kernel info:
; codeLenInByte = 21232
; NumSgprs: 92
; NumVgprs: 163
; NumAgprs: 0
; TotalNumVgprs: 163
; ScratchSize: 0
; MemoryBound: 0
; FloatMode: 240
; IeeeMode: 1
; LDSByteSize: 0 bytes/workgroup (compile time only)
; SGPRBlocks: 11
; VGPRBlocks: 20
; NumSGPRsForWavesPerEU: 92
; NumVGPRsForWavesPerEU: 163
; AccumOffset: 164
; Occupancy: 3
; WaveLimiterHint : 1
; COMPUTE_PGM_RSRC2:SCRATCH_EN: 0
; COMPUTE_PGM_RSRC2:USER_SGPR: 2
; COMPUTE_PGM_RSRC2:TRAP_HANDLER: 0
; COMPUTE_PGM_RSRC2:TGID_X_EN: 1
; COMPUTE_PGM_RSRC2:TGID_Y_EN: 0
; COMPUTE_PGM_RSRC2:TGID_Z_EN: 0
; COMPUTE_PGM_RSRC2:TIDIG_COMP_CNT: 0
; COMPUTE_PGM_RSRC3_GFX90A:ACCUM_OFFSET: 40
; COMPUTE_PGM_RSRC3_GFX90A:TG_SPLIT: 0
	.text
	.p2alignl 6, 3212836864
	.fill 256, 4, 3212836864
	.type	__hip_cuid_616f0cf91ef6917a,@object ; @__hip_cuid_616f0cf91ef6917a
	.section	.bss,"aw",@nobits
	.globl	__hip_cuid_616f0cf91ef6917a
__hip_cuid_616f0cf91ef6917a:
	.byte	0                               ; 0x0
	.size	__hip_cuid_616f0cf91ef6917a, 1

	.ident	"AMD clang version 19.0.0git (https://github.com/RadeonOpenCompute/llvm-project roc-6.4.0 25133 c7fe45cf4b819c5991fe208aaa96edf142730f1d)"
	.section	".note.GNU-stack","",@progbits
	.addrsig
	.addrsig_sym __hip_cuid_616f0cf91ef6917a
	.amdgpu_metadata
---
amdhsa.kernels:
  - .agpr_count:     0
    .args:
      - .actual_access:  read_only
        .address_space:  global
        .offset:         0
        .size:           8
        .value_kind:     global_buffer
      - .offset:         8
        .size:           8
        .value_kind:     by_value
      - .actual_access:  read_only
        .address_space:  global
        .offset:         16
        .size:           8
        .value_kind:     global_buffer
      - .actual_access:  read_only
        .address_space:  global
        .offset:         24
        .size:           8
        .value_kind:     global_buffer
      - .actual_access:  read_only
        .address_space:  global
        .offset:         32
        .size:           8
        .value_kind:     global_buffer
      - .offset:         40
        .size:           8
        .value_kind:     by_value
      - .actual_access:  read_only
        .address_space:  global
        .offset:         48
        .size:           8
        .value_kind:     global_buffer
      - .actual_access:  read_only
        .address_space:  global
        .offset:         56
        .size:           8
        .value_kind:     global_buffer
      - .offset:         64
        .size:           4
        .value_kind:     by_value
      - .actual_access:  read_only
        .address_space:  global
        .offset:         72
        .size:           8
        .value_kind:     global_buffer
      - .actual_access:  read_only
        .address_space:  global
        .offset:         80
        .size:           8
        .value_kind:     global_buffer
      - .actual_access:  read_only
        .address_space:  global
        .offset:         88
        .size:           8
        .value_kind:     global_buffer
      - .actual_access:  write_only
        .address_space:  global
        .offset:         96
        .size:           8
        .value_kind:     global_buffer
    .group_segment_fixed_size: 0
    .kernarg_segment_align: 8
    .kernarg_segment_size: 104
    .language:       OpenCL C
    .language_version:
      - 2
      - 0
    .max_flat_workgroup_size: 51
    .name:           fft_rtc_fwd_len425_factors_17_5_5_wgs_51_tpt_17_halfLds_half_op_CI_CI_sbrr_dirReg
    .private_segment_fixed_size: 0
    .sgpr_count:     92
    .sgpr_spill_count: 0
    .symbol:         fft_rtc_fwd_len425_factors_17_5_5_wgs_51_tpt_17_halfLds_half_op_CI_CI_sbrr_dirReg.kd
    .uniform_work_group_size: 1
    .uses_dynamic_stack: false
    .vgpr_count:     163
    .vgpr_spill_count: 0
    .wavefront_size: 64
amdhsa.target:   amdgcn-amd-amdhsa--gfx950
amdhsa.version:
  - 1
  - 2
...

	.end_amdgpu_metadata
